;; amdgpu-corpus repo=ggml-org/llama.cpp kind=compiled arch=gfx1030 opt=O3
	.amdgcn_target "amdgcn-amd-amdhsa--gfx1030"
	.amdhsa_code_object_version 6
	.section	.text._ZL12ssm_conv_f32ILb1ELm128ELm3EEvPKfS1_S1_iiiiPfiiil,"axG",@progbits,_ZL12ssm_conv_f32ILb1ELm128ELm3EEvPKfS1_S1_iiiiPfiiil,comdat
	.globl	_ZL12ssm_conv_f32ILb1ELm128ELm3EEvPKfS1_S1_iiiiPfiiil ; -- Begin function _ZL12ssm_conv_f32ILb1ELm128ELm3EEvPKfS1_S1_iiiiPfiiil
	.p2align	8
	.type	_ZL12ssm_conv_f32ILb1ELm128ELm3EEvPKfS1_S1_iiiiPfiiil,@function
_ZL12ssm_conv_f32ILb1ELm128ELm3EEvPKfS1_S1_iiiiPfiiil: ; @_ZL12ssm_conv_f32ILb1ELm128ELm3EEvPKfS1_S1_iiiiPfiiil
; %bb.0:
	s_clause 0x2
	s_load_dwordx4 s[8:11], s[4:5], 0x1c
	s_load_dwordx4 s[0:3], s[4:5], 0x0
	s_load_dwordx2 s[12:13], s[4:5], 0x10
	s_mov_b32 s14, s7
	s_ashr_i32 s15, s7, 31
	v_lshlrev_b32_e32 v8, 2, v0
	s_lshl_b64 s[18:19], s[14:15], 7
	s_lshr_b64 s[14:15], s[14:15], 25
	s_waitcnt lgkmcnt(0)
	s_ashr_i32 s7, s10, 31
	s_mul_hi_u32 s11, s18, s10
	s_mul_i32 s7, s18, s7
	s_mul_i32 s14, s14, s10
	s_add_i32 s7, s11, s7
	s_mul_i32 s11, s18, s10
	s_add_i32 s7, s7, s14
	s_add_u32 s11, s2, s11
	s_addc_u32 s20, s3, s7
	s_cmp_eq_u64 s[12:13], 0
	s_cbranch_scc1 .LBB0_2
; %bb.1:
	s_lshl_b64 s[2:3], s[18:19], 2
	s_add_u32 s2, s12, s2
	s_addc_u32 s3, s13, s3
	global_load_dword v10, v8, s[2:3]
	s_load_dwordx2 s[2:3], s[4:5], 0x40
	s_waitcnt lgkmcnt(0)
	v_cmp_lt_i64_e64 s7, s[2:3], 1
	s_and_b32 vcc_lo, exec_lo, s7
	s_cbranch_vccz .LBB0_3
	s_branch .LBB0_6
.LBB0_2:
	v_mov_b32_e32 v10, 0
	s_load_dwordx2 s[2:3], s[4:5], 0x40
	s_waitcnt lgkmcnt(0)
	v_cmp_lt_i64_e64 s7, s[2:3], 1
	s_and_b32 vcc_lo, exec_lo, s7
	s_cbranch_vccnz .LBB0_6
.LBB0_3:
	s_clause 0x1
	s_load_dwordx4 s[12:15], s[4:5], 0x30
	s_load_dwordx2 s[16:17], s[4:5], 0x28
	s_ashr_i32 s7, s10, 2
	s_mul_i32 s4, s9, s6
	s_ashr_i32 s9, s8, 31
	s_mul_hi_u32 s10, s18, s8
	v_mul_lo_u32 v1, s7, v0
	s_mul_i32 s7, s18, s9
	s_waitcnt lgkmcnt(0)
	s_mul_i32 s15, s19, s8
	s_add_i32 s7, s10, s7
	s_ashr_i32 s9, s4, 31
	s_add_i32 s10, s7, s15
	s_mul_i32 s5, s18, s8
	v_ashrrev_i32_e32 v2, 31, v1
	s_mul_i32 s6, s14, s6
	s_mul_hi_u32 s22, s18, s12
	s_ashr_i32 s7, s6, 31
	s_add_u32 s15, s16, s6
	s_addc_u32 s21, s17, s7
	s_ashr_i32 s14, s12, 31
	s_mul_i32 s19, s19, s12
	s_mul_i32 s14, s18, s14
	;; [unrolled: 1-line block ×3, first 2 shown]
	s_add_i32 s14, s22, s14
	s_add_i32 s14, s14, s19
	s_add_u32 s18, s15, s12
	s_addc_u32 s19, s21, s14
	s_add_u32 s15, s0, s4
	s_addc_u32 s21, s1, s9
	;; [unrolled: 2-line block ×3, first 2 shown]
	s_ashr_i32 s8, s8, 2
	s_cmp_eq_u64 s[2:3], 1
	v_mul_lo_u32 v3, s8, v0
	v_lshlrev_b64 v[0:1], 2, v[1:2]
	v_add_co_u32 v0, vcc_lo, s11, v0
	v_ashrrev_i32_e32 v4, 31, v3
	v_add_co_ci_u32_e64 v1, null, s20, v1, vcc_lo
	v_lshlrev_b64 v[6:7], 2, v[3:4]
	v_add_co_u32 v3, vcc_lo, s15, v6
	v_add_co_ci_u32_e64 v4, null, s21, v7, vcc_lo
	global_load_dwordx3 v[0:2], v[0:1], off
	global_load_dwordx3 v[3:5], v[3:4], off
	s_waitcnt vmcnt(0)
	v_fma_f32 v9, v0, v3, 0
	v_fmac_f32_e32 v9, v1, v4
	v_fmac_f32_e32 v9, v2, v5
	v_add_f32_e32 v9, v10, v9
	v_mul_f32_e32 v11, 0xbfb8aa3b, v9
	v_cmp_nlt_f32_e32 vcc_lo, 0x42ce8ed0, v9
	v_fma_f32 v12, 0xbfb8aa3b, v9, -v11
	v_rndne_f32_e32 v13, v11
	v_fmac_f32_e32 v12, 0xb2a5705f, v9
	v_sub_f32_e32 v11, v11, v13
	v_add_f32_e32 v11, v11, v12
	v_cvt_i32_f32_e32 v12, v13
	v_exp_f32_e32 v11, v11
	v_ldexp_f32 v11, v11, v12
	v_cndmask_b32_e32 v11, 0, v11, vcc_lo
	v_cmp_ngt_f32_e32 vcc_lo, 0xc2b17218, v9
	v_cndmask_b32_e32 v11, 0x7f800000, v11, vcc_lo
	v_add_f32_e32 v11, 1.0, v11
	v_div_scale_f32 v12, null, v11, v11, v9
	v_rcp_f32_e32 v13, v12
	v_fma_f32 v14, -v12, v13, 1.0
	v_fmac_f32_e32 v13, v14, v13
	v_div_scale_f32 v14, vcc_lo, v9, v11, v9
	v_mul_f32_e32 v15, v14, v13
	v_fma_f32 v16, -v12, v15, v14
	v_fmac_f32_e32 v15, v16, v13
	v_fma_f32 v12, -v12, v15, v14
	v_div_fmas_f32 v12, v12, v13, v15
	v_div_fixup_f32 v9, v12, v11, v9
	global_store_dword v8, v9, s[18:19]
	s_cbranch_scc1 .LBB0_6
; %bb.4:
	s_ashr_i32 s18, s13, 2
	s_ashr_i32 s19, s18, 31
	s_add_u32 s2, s2, -1
	s_addc_u32 s3, s3, -1
	s_add_u32 s0, s0, s4
	s_addc_u32 s1, s1, s9
	s_add_u32 s0, s0, s5
	s_addc_u32 s1, s1, s10
	s_lshl_b64 s[4:5], s[18:19], 2
	v_add_co_u32 v6, vcc_lo, s0, v6
	s_add_u32 s0, s12, s4
	v_add_co_ci_u32_e64 v7, null, s1, v7, vcc_lo
	s_addc_u32 s1, s14, s5
	s_add_u32 s6, s16, s6
	s_addc_u32 s7, s17, s7
	s_add_u32 s0, s6, s0
	v_add_co_u32 v6, vcc_lo, v6, 12
	s_addc_u32 s1, s7, s1
	v_add_co_u32 v8, s0, s0, v8
	v_add_co_ci_u32_e64 v7, null, 0, v7, vcc_lo
	v_add_co_ci_u32_e64 v9, null, s1, 0, s0
	s_mov_b64 s[6:7], 1
	s_mov_b64 s[8:9], 3
	;; [unrolled: 1-line block ×4, first 2 shown]
.LBB0_5:                                ; =>This Inner Loop Header: Depth=1
	global_load_dword v11, v[6:7], off
	s_mul_i32 s15, s7, 0xaaaaaaab
	s_mul_hi_u32 s16, s6, 0xaaaaaaab
	s_mul_hi_u32 s14, s7, 0xaaaaaaab
	s_mul_i32 s1, s6, 0xaaaaaaaa
	s_add_u32 s15, s15, s16
	s_mul_hi_u32 s0, s6, 0xaaaaaaaa
	s_addc_u32 s14, s14, 0
	s_add_u32 s1, s1, s15
	s_addc_u32 s0, s0, 0
	s_mul_i32 s18, s7, 0xaaaaaaaa
	s_add_u32 s0, s14, s0
	s_mul_hi_u32 s17, s7, 0xaaaaaaaa
	s_addc_u32 s1, 0, 0
	s_add_u32 s0, s18, s0
	s_addc_u32 s1, s17, s1
	s_mul_i32 s22, s9, 0xaaaaaaab
	s_lshr_b64 s[0:1], s[0:1], 1
	s_mul_hi_u32 s23, s8, 0xaaaaaaab
	s_mul_i32 s0, s0, 3
	s_mul_hi_u32 s21, s9, 0xaaaaaaab
	s_sub_i32 s14, s6, s0
	s_mul_i32 s20, s8, 0xaaaaaaaa
	s_add_u32 s0, s22, s23
	s_mul_hi_u32 s19, s8, 0xaaaaaaaa
	s_addc_u32 s1, s21, 0
	s_add_u32 s0, s20, s0
	s_addc_u32 s0, s19, 0
	s_mul_i32 s25, s9, 0xaaaaaaaa
	s_add_u32 s0, s1, s0
	s_mul_hi_u32 s24, s9, 0xaaaaaaaa
	s_addc_u32 s1, 0, 0
	s_add_u32 s0, s25, s0
	s_addc_u32 s1, s24, s1
	s_mul_i32 s29, s11, 0xaaaaaaab
	s_lshr_b64 s[0:1], s[0:1], 1
	s_mul_hi_u32 s30, s10, 0xaaaaaaab
	s_mul_i32 s0, s0, 3
	s_mul_hi_u32 s28, s11, 0xaaaaaaab
	s_sub_i32 s15, s8, s0
	;; [unrolled: 18-line block ×3, first 2 shown]
	s_mul_i32 s35, s12, 0xaaaaaaaa
	s_add_u32 s0, s37, s38
	s_mul_hi_u32 s34, s12, 0xaaaaaaaa
	s_addc_u32 s1, s36, 0
	s_add_u32 s0, s35, s0
	s_addc_u32 s0, s34, 0
	s_mul_i32 s40, s13, 0xaaaaaaaa
	s_add_u32 s0, s1, s0
	s_mul_hi_u32 s39, s13, 0xaaaaaaaa
	s_addc_u32 s1, 0, 0
	s_add_u32 s0, s40, s0
	s_addc_u32 s1, s39, s1
	v_add_co_u32 v6, vcc_lo, v6, 4
	s_lshr_b64 s[0:1], s[0:1], 1
	v_add_co_ci_u32_e64 v7, null, 0, v7, vcc_lo
	s_mul_i32 s0, s0, 3
	s_sub_i32 s1, s12, s0
	s_cmp_eq_u32 s1, 2
	s_cselect_b32 vcc_lo, -1, 0
	s_cmp_eq_u32 s1, 1
	s_cselect_b32 s0, -1, 0
	s_cmp_eq_u32 s1, 0
	s_cselect_b32 s1, -1, 0
	s_cmp_eq_u32 s14, 1
	s_waitcnt vmcnt(0)
	v_cndmask_b32_e64 v4, v4, v11, s0
	v_cndmask_b32_e64 v3, v3, v11, s1
	v_cndmask_b32_e32 v5, v5, v11, vcc_lo
	s_cselect_b32 vcc_lo, -1, 0
	s_cmp_eq_u32 s14, 2
	v_cndmask_b32_e32 v11, v3, v4, vcc_lo
	s_cselect_b32 vcc_lo, -1, 0
	s_add_u32 s6, s6, 1
	s_addc_u32 s7, s7, 0
	s_cmp_eq_u32 s16, 1
	v_cndmask_b32_e32 v11, v11, v5, vcc_lo
	s_cselect_b32 s0, -1, 0
	s_cmp_eq_u32 s16, 2
	v_cndmask_b32_e64 v12, v3, v4, s0
	s_cselect_b32 vcc_lo, -1, 0
	s_cmp_eq_u32 s15, 1
	v_fma_f32 v11, v0, v11, 0
	s_cselect_b32 s0, -1, 0
	v_cndmask_b32_e32 v12, v12, v5, vcc_lo
	v_cndmask_b32_e64 v13, v3, v4, s0
	s_cmp_eq_u32 s15, 2
	s_cselect_b32 vcc_lo, -1, 0
	v_fmac_f32_e32 v11, v1, v12
	v_cndmask_b32_e32 v13, v13, v5, vcc_lo
	s_add_u32 s8, s8, 1
	s_addc_u32 s9, s9, 0
	s_add_u32 s2, s2, -1
	s_addc_u32 s3, s3, -1
	v_fmac_f32_e32 v11, v2, v13
	s_add_u32 s10, s10, 1
	s_addc_u32 s11, s11, 0
	s_add_u32 s12, s12, 1
	s_addc_u32 s13, s13, 0
	v_add_f32_e32 v11, v10, v11
	s_cmp_eq_u64 s[2:3], 0
	v_mul_f32_e32 v12, 0xbfb8aa3b, v11
	v_cmp_nlt_f32_e32 vcc_lo, 0x42ce8ed0, v11
	v_fma_f32 v13, 0xbfb8aa3b, v11, -v12
	v_rndne_f32_e32 v14, v12
	v_fmac_f32_e32 v13, 0xb2a5705f, v11
	v_sub_f32_e32 v12, v12, v14
	v_add_f32_e32 v12, v12, v13
	v_cvt_i32_f32_e32 v13, v14
	v_exp_f32_e32 v12, v12
	v_ldexp_f32 v12, v12, v13
	v_cndmask_b32_e32 v12, 0, v12, vcc_lo
	v_cmp_ngt_f32_e32 vcc_lo, 0xc2b17218, v11
	v_cndmask_b32_e32 v12, 0x7f800000, v12, vcc_lo
	v_add_f32_e32 v12, 1.0, v12
	v_div_scale_f32 v13, null, v12, v12, v11
	v_div_scale_f32 v15, vcc_lo, v11, v12, v11
	v_rcp_f32_e32 v14, v13
	v_fma_f32 v16, -v13, v14, 1.0
	v_fmac_f32_e32 v14, v16, v14
	v_mul_f32_e32 v16, v15, v14
	v_fma_f32 v17, -v13, v16, v15
	v_fmac_f32_e32 v16, v17, v14
	v_fma_f32 v13, -v13, v16, v15
	v_div_fmas_f32 v13, v13, v14, v16
	v_div_fixup_f32 v11, v13, v12, v11
	global_store_dword v[8:9], v11, off
	v_add_co_u32 v8, vcc_lo, v8, s4
	v_add_co_ci_u32_e64 v9, null, s5, v9, vcc_lo
	s_cbranch_scc0 .LBB0_5
.LBB0_6:
	s_endpgm
	.section	.rodata,"a",@progbits
	.p2align	6, 0x0
	.amdhsa_kernel _ZL12ssm_conv_f32ILb1ELm128ELm3EEvPKfS1_S1_iiiiPfiiil
		.amdhsa_group_segment_fixed_size 0
		.amdhsa_private_segment_fixed_size 0
		.amdhsa_kernarg_size 72
		.amdhsa_user_sgpr_count 6
		.amdhsa_user_sgpr_private_segment_buffer 1
		.amdhsa_user_sgpr_dispatch_ptr 0
		.amdhsa_user_sgpr_queue_ptr 0
		.amdhsa_user_sgpr_kernarg_segment_ptr 1
		.amdhsa_user_sgpr_dispatch_id 0
		.amdhsa_user_sgpr_flat_scratch_init 0
		.amdhsa_user_sgpr_private_segment_size 0
		.amdhsa_wavefront_size32 1
		.amdhsa_uses_dynamic_stack 0
		.amdhsa_system_sgpr_private_segment_wavefront_offset 0
		.amdhsa_system_sgpr_workgroup_id_x 1
		.amdhsa_system_sgpr_workgroup_id_y 1
		.amdhsa_system_sgpr_workgroup_id_z 0
		.amdhsa_system_sgpr_workgroup_info 0
		.amdhsa_system_vgpr_workitem_id 0
		.amdhsa_next_free_vgpr 18
		.amdhsa_next_free_sgpr 41
		.amdhsa_reserve_vcc 1
		.amdhsa_reserve_flat_scratch 0
		.amdhsa_float_round_mode_32 0
		.amdhsa_float_round_mode_16_64 0
		.amdhsa_float_denorm_mode_32 3
		.amdhsa_float_denorm_mode_16_64 3
		.amdhsa_dx10_clamp 1
		.amdhsa_ieee_mode 1
		.amdhsa_fp16_overflow 0
		.amdhsa_workgroup_processor_mode 1
		.amdhsa_memory_ordered 1
		.amdhsa_forward_progress 1
		.amdhsa_shared_vgpr_count 0
		.amdhsa_exception_fp_ieee_invalid_op 0
		.amdhsa_exception_fp_denorm_src 0
		.amdhsa_exception_fp_ieee_div_zero 0
		.amdhsa_exception_fp_ieee_overflow 0
		.amdhsa_exception_fp_ieee_underflow 0
		.amdhsa_exception_fp_ieee_inexact 0
		.amdhsa_exception_int_div_zero 0
	.end_amdhsa_kernel
	.section	.text._ZL12ssm_conv_f32ILb1ELm128ELm3EEvPKfS1_S1_iiiiPfiiil,"axG",@progbits,_ZL12ssm_conv_f32ILb1ELm128ELm3EEvPKfS1_S1_iiiiPfiiil,comdat
.Lfunc_end0:
	.size	_ZL12ssm_conv_f32ILb1ELm128ELm3EEvPKfS1_S1_iiiiPfiiil, .Lfunc_end0-_ZL12ssm_conv_f32ILb1ELm128ELm3EEvPKfS1_S1_iiiiPfiiil
                                        ; -- End function
	.set _ZL12ssm_conv_f32ILb1ELm128ELm3EEvPKfS1_S1_iiiiPfiiil.num_vgpr, 18
	.set _ZL12ssm_conv_f32ILb1ELm128ELm3EEvPKfS1_S1_iiiiPfiiil.num_agpr, 0
	.set _ZL12ssm_conv_f32ILb1ELm128ELm3EEvPKfS1_S1_iiiiPfiiil.numbered_sgpr, 41
	.set _ZL12ssm_conv_f32ILb1ELm128ELm3EEvPKfS1_S1_iiiiPfiiil.num_named_barrier, 0
	.set _ZL12ssm_conv_f32ILb1ELm128ELm3EEvPKfS1_S1_iiiiPfiiil.private_seg_size, 0
	.set _ZL12ssm_conv_f32ILb1ELm128ELm3EEvPKfS1_S1_iiiiPfiiil.uses_vcc, 1
	.set _ZL12ssm_conv_f32ILb1ELm128ELm3EEvPKfS1_S1_iiiiPfiiil.uses_flat_scratch, 0
	.set _ZL12ssm_conv_f32ILb1ELm128ELm3EEvPKfS1_S1_iiiiPfiiil.has_dyn_sized_stack, 0
	.set _ZL12ssm_conv_f32ILb1ELm128ELm3EEvPKfS1_S1_iiiiPfiiil.has_recursion, 0
	.set _ZL12ssm_conv_f32ILb1ELm128ELm3EEvPKfS1_S1_iiiiPfiiil.has_indirect_call, 0
	.section	.AMDGPU.csdata,"",@progbits
; Kernel info:
; codeLenInByte = 1536
; TotalNumSgprs: 43
; NumVgprs: 18
; ScratchSize: 0
; MemoryBound: 0
; FloatMode: 240
; IeeeMode: 1
; LDSByteSize: 0 bytes/workgroup (compile time only)
; SGPRBlocks: 0
; VGPRBlocks: 2
; NumSGPRsForWavesPerEU: 43
; NumVGPRsForWavesPerEU: 18
; Occupancy: 16
; WaveLimiterHint : 0
; COMPUTE_PGM_RSRC2:SCRATCH_EN: 0
; COMPUTE_PGM_RSRC2:USER_SGPR: 6
; COMPUTE_PGM_RSRC2:TRAP_HANDLER: 0
; COMPUTE_PGM_RSRC2:TGID_X_EN: 1
; COMPUTE_PGM_RSRC2:TGID_Y_EN: 1
; COMPUTE_PGM_RSRC2:TGID_Z_EN: 0
; COMPUTE_PGM_RSRC2:TIDIG_COMP_CNT: 0
	.section	.text._ZL23ssm_conv_long_token_f32ILb1ELm128ELm3ELl32EEvPKfS1_S1_iiiiPfiiil,"axG",@progbits,_ZL23ssm_conv_long_token_f32ILb1ELm128ELm3ELl32EEvPKfS1_S1_iiiiPfiiil,comdat
	.globl	_ZL23ssm_conv_long_token_f32ILb1ELm128ELm3ELl32EEvPKfS1_S1_iiiiPfiiil ; -- Begin function _ZL23ssm_conv_long_token_f32ILb1ELm128ELm3ELl32EEvPKfS1_S1_iiiiPfiiil
	.p2align	8
	.type	_ZL23ssm_conv_long_token_f32ILb1ELm128ELm3ELl32EEvPKfS1_S1_iiiiPfiiil,@function
_ZL23ssm_conv_long_token_f32ILb1ELm128ELm3ELl32EEvPKfS1_S1_iiiiPfiiil: ; @_ZL23ssm_conv_long_token_f32ILb1ELm128ELm3ELl32EEvPKfS1_S1_iiiiPfiiil
; %bb.0:
	s_clause 0x1
	s_load_dwordx2 s[12:13], s[4:5], 0x0
	s_load_dwordx4 s[0:3], s[4:5], 0x18
	s_mov_b32 s10, s7
	v_mul_u32_u24_e32 v1, 0x788, v0
	v_lshrrev_b32_e32 v4, 16, v1
	v_mul_lo_u16 v1, v4, 34
	v_sub_nc_u16 v5, v0, v1
	s_waitcnt lgkmcnt(0)
	s_mul_i32 s2, s2, s6
	v_and_b32_e32 v1, 0xffff, v5
	s_ashr_i32 s7, s2, 31
	s_add_u32 s2, s12, s2
	s_addc_u32 s7, s13, s7
	s_ashr_i32 s11, s10, 31
	s_ashr_i32 s9, s1, 31
	s_lshl_b64 s[12:13], s[10:11], 7
	s_lshr_b64 s[10:11], s[10:11], 25
	s_mul_i32 s9, s12, s9
	s_mul_hi_u32 s14, s12, s1
	s_mul_i32 s10, s10, s1
	s_add_i32 s9, s14, s9
	s_add_i32 s9, s9, s10
	s_mul_i32 s10, s12, s1
	s_add_u32 s2, s2, s10
	s_addc_u32 s7, s7, s9
	s_ashr_i32 s9, s8, 31
	s_ashr_i32 s10, s0, 31
	s_lshl_b64 s[14:15], s[8:9], 5
	s_lshr_b64 s[8:9], s[8:9], 27
	s_mul_i32 s10, s14, s10
	s_mul_hi_u32 s11, s14, s0
	s_mul_i32 s8, s8, s0
	s_add_i32 s10, s11, s10
	s_mul_i32 s0, s14, s0
	s_add_i32 s10, s10, s8
	s_add_u32 s0, s2, s0
	s_addc_u32 s2, s7, s10
	s_ashr_i32 s1, s1, 2
	s_mov_b32 s7, exec_lo
	v_mad_u64_u32 v[2:3], null, s1, v4, v[1:2]
	v_lshlrev_b32_e32 v1, 2, v1
	v_ashrrev_i32_e32 v3, 31, v2
	v_lshlrev_b64 v[2:3], 2, v[2:3]
	v_add_co_u32 v2, vcc_lo, s0, v2
	v_add_co_ci_u32_e64 v3, null, s2, v3, vcc_lo
	global_load_dword v2, v[2:3], off
	v_mul_u32_u24_e32 v3, 0x88, v4
	v_add3_u32 v1, 0, v3, v1
	s_waitcnt vmcnt(0)
	ds_write_b32 v1, v2
	v_or_b32_e32 v1, 0x80, v5
	v_mul_lo_u16 v2, 0xf1, v1
	v_lshrrev_b16 v2, 13, v2
	v_add_nc_u32_sdwa v4, v4, v2 dst_sel:DWORD dst_unused:UNUSED_PAD src0_sel:DWORD src1_sel:WORD_0
	v_mul_lo_u16 v2, v2, 34
	v_sub_nc_u16 v1, v1, v2
	v_and_b32_e32 v1, 0xff, v1
	v_mad_u64_u32 v[2:3], null, v4, s1, v[1:2]
	v_lshlrev_b32_e32 v5, 2, v1
	v_or_b32_e32 v1, 0x80, v1
	v_ashrrev_i32_e32 v3, 31, v2
	v_lshlrev_b64 v[2:3], 2, v[2:3]
	v_add_co_u32 v2, vcc_lo, s0, v2
	v_add_co_ci_u32_e64 v3, null, s2, v3, vcc_lo
	global_load_dword v2, v[2:3], off
	v_mul_u32_u24_e32 v3, 0x88, v4
	v_add3_u32 v3, 0, v3, v5
	s_waitcnt vmcnt(0)
	ds_write_b32 v3, v2
	v_mul_lo_u16 v2, 0xf1, v1
	v_lshrrev_b16 v2, 13, v2
	v_add_nc_u32_sdwa v4, v4, v2 dst_sel:DWORD dst_unused:UNUSED_PAD src0_sel:DWORD src1_sel:WORD_0
	v_mul_lo_u16 v2, v2, 34
	v_sub_nc_u16 v1, v1, v2
	v_and_b32_e32 v1, 0xff, v1
	v_mad_u64_u32 v[2:3], null, v4, s1, v[1:2]
	v_lshlrev_b32_e32 v5, 2, v1
	v_or_b32_e32 v1, 0x80, v1
	v_ashrrev_i32_e32 v3, 31, v2
	v_lshlrev_b64 v[2:3], 2, v[2:3]
	v_add_co_u32 v2, vcc_lo, s0, v2
	v_add_co_ci_u32_e64 v3, null, s2, v3, vcc_lo
	global_load_dword v2, v[2:3], off
	v_mul_u32_u24_e32 v3, 0x88, v4
	v_add3_u32 v3, 0, v3, v5
	s_waitcnt vmcnt(0)
	ds_write_b32 v3, v2
	;; [unrolled: 18-line block ×5, first 2 shown]
	v_mul_lo_u16 v2, 0xf1, v1
	v_lshrrev_b16 v2, 13, v2
	v_add_nc_u32_sdwa v4, v4, v2 dst_sel:DWORD dst_unused:UNUSED_PAD src0_sel:DWORD src1_sel:WORD_0
	v_mul_lo_u16 v2, v2, 34
	v_sub_nc_u16 v1, v1, v2
	v_and_b32_e32 v1, 0xff, v1
	v_mad_u64_u32 v[2:3], null, v4, s1, v[1:2]
	v_lshlrev_b32_e32 v5, 2, v1
	v_or_b32_e32 v1, 0x80, v1
	v_ashrrev_i32_e32 v3, 31, v2
	v_lshlrev_b64 v[2:3], 2, v[2:3]
	v_add_co_u32 v2, vcc_lo, s0, v2
	v_add_co_ci_u32_e64 v3, null, s2, v3, vcc_lo
	global_load_dword v2, v[2:3], off
	v_mul_lo_u32 v3, 0x88, v4
	v_add3_u32 v3, 0, v3, v5
	s_waitcnt vmcnt(0)
	ds_write_b32 v3, v2
	v_mul_lo_u16 v2, 0xf1, v1
	v_lshrrev_b16 v2, 13, v2
	v_add_nc_u32_sdwa v4, v4, v2 dst_sel:DWORD dst_unused:UNUSED_PAD src0_sel:DWORD src1_sel:WORD_0
	v_mul_lo_u16 v2, v2, 34
	v_sub_nc_u16 v1, v1, v2
	v_and_b32_e32 v1, 0xff, v1
	v_mad_u64_u32 v[2:3], null, v4, s1, v[1:2]
	v_lshlrev_b32_e32 v5, 2, v1
	v_or_b32_e32 v1, 0x80, v1
	v_ashrrev_i32_e32 v3, 31, v2
	v_lshlrev_b64 v[2:3], 2, v[2:3]
	v_add_co_u32 v2, vcc_lo, s0, v2
	v_add_co_ci_u32_e64 v3, null, s2, v3, vcc_lo
	global_load_dword v2, v[2:3], off
	v_mul_lo_u32 v3, 0x88, v4
	v_add3_u32 v3, 0, v3, v5
	s_waitcnt vmcnt(0)
	ds_write_b32 v3, v2
	;; [unrolled: 18-line block ×14, first 2 shown]
	v_mul_lo_u16 v2, 0xf1, v1
	v_lshrrev_b16 v3, 13, v2
	v_add_nc_u32_sdwa v2, v4, v3 dst_sel:DWORD dst_unused:UNUSED_PAD src0_sel:DWORD src1_sel:WORD_0
	v_mul_lo_u16 v3, v3, 34
	v_sub_nc_u16 v1, v1, v3
	v_and_b32_e32 v1, 0xff, v1
	v_cmpx_gt_u32_e32 0x80, v2
	s_cbranch_execz .LBB1_2
; %bb.1:
	v_mad_u64_u32 v[3:4], null, v2, s1, v[1:2]
	v_lshlrev_b32_e32 v5, 2, v1
	v_ashrrev_i32_e32 v4, 31, v3
	v_lshlrev_b64 v[3:4], 2, v[3:4]
	v_add_co_u32 v3, vcc_lo, s0, v3
	v_add_co_ci_u32_e64 v4, null, s2, v4, vcc_lo
	global_load_dword v3, v[3:4], off
	v_mul_lo_u32 v4, 0x88, v2
	v_add3_u32 v4, 0, v4, v5
	s_waitcnt vmcnt(0)
	ds_write_b32 v4, v3
.LBB1_2:
	s_or_b32 exec_lo, exec_lo, s7
	v_or_b32_e32 v1, 0x80, v1
	s_mov_b32 s7, exec_lo
	v_mul_lo_u16 v3, 0xf1, v1
	v_lshrrev_b16 v3, 13, v3
	v_mul_lo_u16 v4, v3, 34
	v_add_nc_u32_sdwa v2, v2, v3 dst_sel:DWORD dst_unused:UNUSED_PAD src0_sel:DWORD src1_sel:WORD_0
	v_sub_nc_u16 v1, v1, v4
	v_and_b32_e32 v1, 0xff, v1
	v_cmpx_gt_u32_e32 0x80, v2
	s_cbranch_execz .LBB1_4
; %bb.3:
	v_mad_u64_u32 v[3:4], null, v2, s1, v[1:2]
	v_lshlrev_b32_e32 v5, 2, v1
	v_ashrrev_i32_e32 v4, 31, v3
	v_lshlrev_b64 v[3:4], 2, v[3:4]
	v_add_co_u32 v3, vcc_lo, s0, v3
	v_add_co_ci_u32_e64 v4, null, s2, v4, vcc_lo
	global_load_dword v3, v[3:4], off
	v_mul_lo_u32 v4, 0x88, v2
	v_add3_u32 v4, 0, v4, v5
	s_waitcnt vmcnt(0)
	ds_write_b32 v4, v3
.LBB1_4:
	s_or_b32 exec_lo, exec_lo, s7
	v_or_b32_e32 v1, 0x80, v1
	s_mov_b32 s7, exec_lo
	v_mul_lo_u16 v3, 0xf1, v1
	v_lshrrev_b16 v3, 13, v3
	v_mul_lo_u16 v4, v3, 34
	v_add_nc_u32_sdwa v2, v2, v3 dst_sel:DWORD dst_unused:UNUSED_PAD src0_sel:DWORD src1_sel:WORD_0
	;; [unrolled: 24-line block ×6, first 2 shown]
	v_sub_nc_u16 v1, v1, v4
	v_and_b32_e32 v1, 0xff, v1
	v_cmpx_gt_u32_e32 0x80, v2
	s_cbranch_execz .LBB1_14
; %bb.13:
	v_mad_u64_u32 v[3:4], null, v2, s1, v[1:2]
	v_lshlrev_b32_e32 v5, 2, v1
	v_ashrrev_i32_e32 v4, 31, v3
	v_lshlrev_b64 v[3:4], 2, v[3:4]
	v_add_co_u32 v3, vcc_lo, s0, v3
	v_add_co_ci_u32_e64 v4, null, s2, v4, vcc_lo
	global_load_dword v3, v[3:4], off
	v_mul_lo_u32 v4, 0x88, v2
	v_add3_u32 v4, 0, v4, v5
	s_waitcnt vmcnt(0)
	ds_write_b32 v4, v3
.LBB1_14:
	s_or_b32 exec_lo, exec_lo, s7
	s_clause 0x1
	s_load_dwordx4 s[8:11], s[4:5], 0x8
	s_load_dwordx2 s[16:17], s[4:5], 0x28
	s_mov_b32 s7, exec_lo
	v_cmpx_gt_u32_e32 0x380, v0
	s_cbranch_execz .LBB1_35
; %bb.15:
	v_or_b32_e32 v1, 0x80, v1
	s_mov_b32 s18, exec_lo
	v_mul_lo_u16 v3, 0xf1, v1
	v_lshrrev_b16 v3, 13, v3
	v_mul_lo_u16 v4, v3, 34
	v_add_nc_u32_sdwa v2, v2, v3 dst_sel:DWORD dst_unused:UNUSED_PAD src0_sel:DWORD src1_sel:WORD_0
	v_sub_nc_u16 v1, v1, v4
	v_and_b32_e32 v1, 0xff, v1
	v_cmpx_gt_u32_e32 0x80, v2
	s_cbranch_execz .LBB1_17
; %bb.16:
	v_mad_u64_u32 v[3:4], null, v2, s1, v[1:2]
	v_lshlrev_b32_e32 v5, 2, v1
	v_ashrrev_i32_e32 v4, 31, v3
	v_lshlrev_b64 v[3:4], 2, v[3:4]
	v_add_co_u32 v3, vcc_lo, s0, v3
	v_add_co_ci_u32_e64 v4, null, s2, v4, vcc_lo
	global_load_dword v3, v[3:4], off
	v_mul_lo_u32 v4, 0x88, v2
	v_add3_u32 v4, 0, v4, v5
	s_waitcnt vmcnt(0)
	ds_write_b32 v4, v3
.LBB1_17:
	s_or_b32 exec_lo, exec_lo, s18
	v_cmp_gt_u32_e32 vcc_lo, 0x300, v0
	s_and_b32 exec_lo, exec_lo, vcc_lo
	s_cbranch_execz .LBB1_35
; %bb.18:
	v_or_b32_e32 v1, 0x80, v1
	s_mov_b32 s18, exec_lo
	v_mul_lo_u16 v3, 0xf1, v1
	v_lshrrev_b16 v3, 13, v3
	v_mul_lo_u16 v4, v3, 34
	v_add_nc_u32_sdwa v2, v2, v3 dst_sel:DWORD dst_unused:UNUSED_PAD src0_sel:DWORD src1_sel:WORD_0
	v_sub_nc_u16 v1, v1, v4
	v_and_b32_e32 v1, 0xff, v1
	v_cmpx_gt_u32_e32 0x80, v2
	s_cbranch_execz .LBB1_20
; %bb.19:
	v_mad_u64_u32 v[3:4], null, v2, s1, v[1:2]
	v_lshlrev_b32_e32 v5, 2, v1
	v_ashrrev_i32_e32 v4, 31, v3
	v_lshlrev_b64 v[3:4], 2, v[3:4]
	v_add_co_u32 v3, vcc_lo, s0, v3
	v_add_co_ci_u32_e64 v4, null, s2, v4, vcc_lo
	global_load_dword v3, v[3:4], off
	v_mul_lo_u32 v4, 0x88, v2
	v_add3_u32 v4, 0, v4, v5
	s_waitcnt vmcnt(0)
	ds_write_b32 v4, v3
.LBB1_20:
	s_or_b32 exec_lo, exec_lo, s18
	v_cmp_gt_u32_e32 vcc_lo, 0x280, v0
	s_and_b32 exec_lo, exec_lo, vcc_lo
	;; [unrolled: 28-line block ×6, first 2 shown]
	s_cbranch_execz .LBB1_35
; %bb.33:
	v_or_b32_e32 v3, 0x80, v1
	v_mul_lo_u16 v1, 0xf1, v3
	v_lshrrev_b16 v4, 13, v1
	v_add_nc_u32_sdwa v1, v2, v4 dst_sel:DWORD dst_unused:UNUSED_PAD src0_sel:DWORD src1_sel:WORD_0
	v_cmp_gt_u32_e32 vcc_lo, 0x80, v1
	s_and_b32 exec_lo, exec_lo, vcc_lo
	s_cbranch_execz .LBB1_35
; %bb.34:
	v_mul_lo_u16 v2, v4, 34
	v_sub_nc_u16 v2, v3, v2
	v_and_b32_e32 v2, 0xff, v2
	v_mad_u64_u32 v[3:4], null, v1, s1, v[2:3]
	v_mul_lo_u32 v1, 0x88, v1
	v_lshlrev_b32_e32 v2, 2, v2
	v_ashrrev_i32_e32 v4, 31, v3
	v_add3_u32 v1, 0, v1, v2
	v_lshlrev_b64 v[3:4], 2, v[3:4]
	v_add_co_u32 v3, vcc_lo, s0, v3
	v_add_co_ci_u32_e64 v4, null, s2, v4, vcc_lo
	global_load_dword v3, v[3:4], off
	s_waitcnt vmcnt(0)
	ds_write_b32 v1, v3
.LBB1_35:
	s_or_b32 exec_lo, exec_lo, s7
	s_ashr_i32 s0, s3, 31
	s_mul_hi_u32 s1, s12, s3
	s_mul_i32 s0, s12, s0
	s_mul_i32 s2, s13, s3
	s_add_i32 s0, s1, s0
	s_mul_i32 s1, s12, s3
	s_add_i32 s0, s0, s2
	s_waitcnt lgkmcnt(0)
	s_add_u32 s1, s8, s1
	s_addc_u32 s0, s9, s0
	s_ashr_i32 s2, s3, 2
	v_mul_lo_u32 v1, s2, v0
	s_barrier
	buffer_gl0_inv
	v_lshlrev_b32_e32 v5, 2, v0
	s_cmp_eq_u64 s[10:11], 0
	v_ashrrev_i32_e32 v2, 31, v1
	v_lshlrev_b64 v[1:2], 2, v[1:2]
	v_add_co_u32 v1, vcc_lo, s1, v1
	v_add_co_ci_u32_e64 v2, null, s0, v2, vcc_lo
	global_load_dwordx3 v[1:3], v[1:2], off
	s_cbranch_scc1 .LBB1_37
; %bb.36:
	s_lshl_b64 s[0:1], s[12:13], 2
	s_add_u32 s0, s10, s0
	s_addc_u32 s1, s11, s1
	global_load_dword v8, v5, s[0:1]
	s_branch .LBB1_38
.LBB1_37:
	v_mov_b32_e32 v8, 0
.LBB1_38:
	s_load_dwordx2 s[0:1], s[4:5], 0x40
	s_waitcnt lgkmcnt(0)
	s_sub_u32 s8, s0, s14
	s_subb_u32 s9, s1, s15
	v_cmp_lt_i64_e64 s0, s[8:9], 1
	s_and_b32 vcc_lo, exec_lo, s0
	s_cbranch_vccnz .LBB1_41
; %bb.39:
	s_load_dwordx4 s[0:3], s[4:5], 0x30
	v_mad_u32_u24 v0, 0x88, v0, 0
	ds_read_b32 v4, v0
	s_waitcnt lgkmcnt(0)
	s_mul_i32 s2, s2, s6
	s_mul_hi_u32 s5, s14, s1
	s_ashr_i32 s3, s2, 31
	s_add_u32 s2, s16, s2
	s_addc_u32 s3, s17, s3
	s_ashr_i32 s4, s1, 31
	s_mul_i32 s6, s15, s1
	s_mul_i32 s4, s14, s4
	s_add_i32 s4, s5, s4
	s_mul_i32 s5, s14, s1
	s_add_i32 s4, s4, s6
	s_add_u32 s2, s2, s5
	s_addc_u32 s3, s3, s4
	s_ashr_i32 s4, s0, 31
	s_mul_hi_u32 s5, s12, s0
	s_mul_i32 s4, s12, s4
	s_mul_i32 s6, s13, s0
	s_add_i32 s4, s5, s4
	s_mul_i32 s0, s12, s0
	s_add_i32 s4, s4, s6
	s_add_u32 s0, s2, s0
	s_addc_u32 s4, s3, s4
	s_ashr_i32 s2, s1, 2
	v_cmp_lt_u64_e64 s1, s[8:9], 32
	v_add_co_u32 v6, s0, s0, v5
	v_add_co_ci_u32_e64 v7, null, s4, 0, s0
	s_ashr_i32 s3, s2, 31
	s_and_b32 s0, s1, exec_lo
	s_cselect_b32 s1, s9, 0
	s_cselect_b32 s0, s8, 32
	s_lshl_b64 s[2:3], s[2:3], 2
.LBB1_40:                               ; =>This Inner Loop Header: Depth=1
	s_waitcnt vmcnt(0)
	v_fma_f32 v9, v1, v4, 0
	ds_read2_b32 v[4:5], v0 offset0:1 offset1:2
	v_add_nc_u32_e32 v0, 4, v0
	s_add_u32 s0, s0, -1
	s_addc_u32 s1, s1, -1
	s_cmp_lg_u64 s[0:1], 0
	s_waitcnt lgkmcnt(0)
	v_fmac_f32_e32 v9, v2, v4
	v_fmac_f32_e32 v9, v3, v5
	v_add_f32_e32 v5, v8, v9
	v_mul_f32_e32 v9, 0xbfb8aa3b, v5
	v_cmp_nlt_f32_e32 vcc_lo, 0x42ce8ed0, v5
	v_fma_f32 v10, 0xbfb8aa3b, v5, -v9
	v_rndne_f32_e32 v11, v9
	v_fmac_f32_e32 v10, 0xb2a5705f, v5
	v_sub_f32_e32 v9, v9, v11
	v_add_f32_e32 v9, v9, v10
	v_cvt_i32_f32_e32 v10, v11
	v_exp_f32_e32 v9, v9
	v_ldexp_f32 v9, v9, v10
	v_cndmask_b32_e32 v9, 0, v9, vcc_lo
	v_cmp_ngt_f32_e32 vcc_lo, 0xc2b17218, v5
	v_cndmask_b32_e32 v9, 0x7f800000, v9, vcc_lo
	v_add_f32_e32 v9, 1.0, v9
	v_div_scale_f32 v10, null, v9, v9, v5
	v_div_scale_f32 v12, vcc_lo, v5, v9, v5
	v_rcp_f32_e32 v11, v10
	v_fma_f32 v13, -v10, v11, 1.0
	v_fmac_f32_e32 v11, v13, v11
	v_mul_f32_e32 v13, v12, v11
	v_fma_f32 v14, -v10, v13, v12
	v_fmac_f32_e32 v13, v14, v11
	v_fma_f32 v10, -v10, v13, v12
	v_div_fmas_f32 v10, v10, v11, v13
	v_div_fixup_f32 v5, v10, v9, v5
	global_store_dword v[6:7], v5, off
	v_add_co_u32 v6, vcc_lo, v6, s2
	v_add_co_ci_u32_e64 v7, null, s3, v7, vcc_lo
	s_cbranch_scc1 .LBB1_40
.LBB1_41:
	s_endpgm
	.section	.rodata,"a",@progbits
	.p2align	6, 0x0
	.amdhsa_kernel _ZL23ssm_conv_long_token_f32ILb1ELm128ELm3ELl32EEvPKfS1_S1_iiiiPfiiil
		.amdhsa_group_segment_fixed_size 0
		.amdhsa_private_segment_fixed_size 0
		.amdhsa_kernarg_size 72
		.amdhsa_user_sgpr_count 6
		.amdhsa_user_sgpr_private_segment_buffer 1
		.amdhsa_user_sgpr_dispatch_ptr 0
		.amdhsa_user_sgpr_queue_ptr 0
		.amdhsa_user_sgpr_kernarg_segment_ptr 1
		.amdhsa_user_sgpr_dispatch_id 0
		.amdhsa_user_sgpr_flat_scratch_init 0
		.amdhsa_user_sgpr_private_segment_size 0
		.amdhsa_wavefront_size32 1
		.amdhsa_uses_dynamic_stack 0
		.amdhsa_system_sgpr_private_segment_wavefront_offset 0
		.amdhsa_system_sgpr_workgroup_id_x 1
		.amdhsa_system_sgpr_workgroup_id_y 1
		.amdhsa_system_sgpr_workgroup_id_z 1
		.amdhsa_system_sgpr_workgroup_info 0
		.amdhsa_system_vgpr_workitem_id 0
		.amdhsa_next_free_vgpr 15
		.amdhsa_next_free_sgpr 19
		.amdhsa_reserve_vcc 1
		.amdhsa_reserve_flat_scratch 0
		.amdhsa_float_round_mode_32 0
		.amdhsa_float_round_mode_16_64 0
		.amdhsa_float_denorm_mode_32 3
		.amdhsa_float_denorm_mode_16_64 3
		.amdhsa_dx10_clamp 1
		.amdhsa_ieee_mode 1
		.amdhsa_fp16_overflow 0
		.amdhsa_workgroup_processor_mode 1
		.amdhsa_memory_ordered 1
		.amdhsa_forward_progress 1
		.amdhsa_shared_vgpr_count 0
		.amdhsa_exception_fp_ieee_invalid_op 0
		.amdhsa_exception_fp_denorm_src 0
		.amdhsa_exception_fp_ieee_div_zero 0
		.amdhsa_exception_fp_ieee_overflow 0
		.amdhsa_exception_fp_ieee_underflow 0
		.amdhsa_exception_fp_ieee_inexact 0
		.amdhsa_exception_int_div_zero 0
	.end_amdhsa_kernel
	.section	.text._ZL23ssm_conv_long_token_f32ILb1ELm128ELm3ELl32EEvPKfS1_S1_iiiiPfiiil,"axG",@progbits,_ZL23ssm_conv_long_token_f32ILb1ELm128ELm3ELl32EEvPKfS1_S1_iiiiPfiiil,comdat
.Lfunc_end1:
	.size	_ZL23ssm_conv_long_token_f32ILb1ELm128ELm3ELl32EEvPKfS1_S1_iiiiPfiiil, .Lfunc_end1-_ZL23ssm_conv_long_token_f32ILb1ELm128ELm3ELl32EEvPKfS1_S1_iiiiPfiiil
                                        ; -- End function
	.set _ZL23ssm_conv_long_token_f32ILb1ELm128ELm3ELl32EEvPKfS1_S1_iiiiPfiiil.num_vgpr, 15
	.set _ZL23ssm_conv_long_token_f32ILb1ELm128ELm3ELl32EEvPKfS1_S1_iiiiPfiiil.num_agpr, 0
	.set _ZL23ssm_conv_long_token_f32ILb1ELm128ELm3ELl32EEvPKfS1_S1_iiiiPfiiil.numbered_sgpr, 19
	.set _ZL23ssm_conv_long_token_f32ILb1ELm128ELm3ELl32EEvPKfS1_S1_iiiiPfiiil.num_named_barrier, 0
	.set _ZL23ssm_conv_long_token_f32ILb1ELm128ELm3ELl32EEvPKfS1_S1_iiiiPfiiil.private_seg_size, 0
	.set _ZL23ssm_conv_long_token_f32ILb1ELm128ELm3ELl32EEvPKfS1_S1_iiiiPfiiil.uses_vcc, 1
	.set _ZL23ssm_conv_long_token_f32ILb1ELm128ELm3ELl32EEvPKfS1_S1_iiiiPfiiil.uses_flat_scratch, 0
	.set _ZL23ssm_conv_long_token_f32ILb1ELm128ELm3ELl32EEvPKfS1_S1_iiiiPfiiil.has_dyn_sized_stack, 0
	.set _ZL23ssm_conv_long_token_f32ILb1ELm128ELm3ELl32EEvPKfS1_S1_iiiiPfiiil.has_recursion, 0
	.set _ZL23ssm_conv_long_token_f32ILb1ELm128ELm3ELl32EEvPKfS1_S1_iiiiPfiiil.has_indirect_call, 0
	.section	.AMDGPU.csdata,"",@progbits
; Kernel info:
; codeLenInByte = 5856
; TotalNumSgprs: 21
; NumVgprs: 15
; ScratchSize: 0
; MemoryBound: 0
; FloatMode: 240
; IeeeMode: 1
; LDSByteSize: 0 bytes/workgroup (compile time only)
; SGPRBlocks: 0
; VGPRBlocks: 1
; NumSGPRsForWavesPerEU: 21
; NumVGPRsForWavesPerEU: 15
; Occupancy: 16
; WaveLimiterHint : 0
; COMPUTE_PGM_RSRC2:SCRATCH_EN: 0
; COMPUTE_PGM_RSRC2:USER_SGPR: 6
; COMPUTE_PGM_RSRC2:TRAP_HANDLER: 0
; COMPUTE_PGM_RSRC2:TGID_X_EN: 1
; COMPUTE_PGM_RSRC2:TGID_Y_EN: 1
; COMPUTE_PGM_RSRC2:TGID_Z_EN: 1
; COMPUTE_PGM_RSRC2:TIDIG_COMP_CNT: 0
	.section	.text._ZL12ssm_conv_f32ILb1ELm128ELm4EEvPKfS1_S1_iiiiPfiiil,"axG",@progbits,_ZL12ssm_conv_f32ILb1ELm128ELm4EEvPKfS1_S1_iiiiPfiiil,comdat
	.globl	_ZL12ssm_conv_f32ILb1ELm128ELm4EEvPKfS1_S1_iiiiPfiiil ; -- Begin function _ZL12ssm_conv_f32ILb1ELm128ELm4EEvPKfS1_S1_iiiiPfiiil
	.p2align	8
	.type	_ZL12ssm_conv_f32ILb1ELm128ELm4EEvPKfS1_S1_iiiiPfiiil,@function
_ZL12ssm_conv_f32ILb1ELm128ELm4EEvPKfS1_S1_iiiiPfiiil: ; @_ZL12ssm_conv_f32ILb1ELm128ELm4EEvPKfS1_S1_iiiiPfiiil
; %bb.0:
	s_clause 0x2
	s_load_dwordx4 s[8:11], s[4:5], 0x1c
	s_load_dwordx4 s[0:3], s[4:5], 0x0
	s_load_dwordx2 s[12:13], s[4:5], 0x10
	s_mov_b32 s14, s7
	s_ashr_i32 s15, s7, 31
	v_lshlrev_b32_e32 v10, 2, v0
	s_lshl_b64 s[18:19], s[14:15], 7
	s_lshr_b64 s[14:15], s[14:15], 25
	s_waitcnt lgkmcnt(0)
	s_ashr_i32 s7, s10, 31
	s_mul_hi_u32 s11, s18, s10
	s_mul_i32 s7, s18, s7
	s_mul_i32 s14, s14, s10
	s_add_i32 s7, s11, s7
	s_mul_i32 s11, s18, s10
	s_add_i32 s7, s7, s14
	s_add_u32 s20, s2, s11
	s_addc_u32 s21, s3, s7
	s_cmp_eq_u64 s[12:13], 0
	s_cbranch_scc1 .LBB2_2
; %bb.1:
	s_lshl_b64 s[2:3], s[18:19], 2
	s_add_u32 s2, s12, s2
	s_addc_u32 s3, s13, s3
	global_load_dword v12, v10, s[2:3]
	s_load_dwordx2 s[2:3], s[4:5], 0x40
	s_waitcnt lgkmcnt(0)
	v_cmp_lt_i64_e64 s7, s[2:3], 1
	s_and_b32 vcc_lo, exec_lo, s7
	s_cbranch_vccz .LBB2_3
	s_branch .LBB2_6
.LBB2_2:
	v_mov_b32_e32 v12, 0
	s_load_dwordx2 s[2:3], s[4:5], 0x40
	s_waitcnt lgkmcnt(0)
	v_cmp_lt_i64_e64 s7, s[2:3], 1
	s_and_b32 vcc_lo, exec_lo, s7
	s_cbranch_vccnz .LBB2_6
.LBB2_3:
	s_clause 0x1
	s_load_dwordx4 s[12:15], s[4:5], 0x30
	s_load_dwordx2 s[16:17], s[4:5], 0x28
	s_ashr_i32 s4, s10, 2
	s_ashr_i32 s5, s8, 31
	s_mul_i32 s7, s9, s6
	s_mul_hi_u32 s9, s18, s8
	v_mul_lo_u32 v1, s4, v0
	s_mul_i32 s4, s18, s5
	s_mul_i32 s10, s19, s8
	s_add_i32 s4, s9, s4
	s_waitcnt lgkmcnt(0)
	s_ashr_i32 s15, s7, 31
	s_mul_i32 s11, s18, s8
	v_ashrrev_i32_e32 v2, 31, v1
	s_mul_i32 s9, s14, s6
	s_add_i32 s6, s4, s10
	s_ashr_i32 s10, s9, 31
	s_add_u32 s4, s16, s9
	s_addc_u32 s5, s17, s10
	s_ashr_i32 s14, s12, 31
	s_mul_hi_u32 s22, s18, s12
	s_mul_i32 s14, s18, s14
	s_mul_i32 s19, s19, s12
	s_add_i32 s14, s22, s14
	s_mul_i32 s12, s18, s12
	s_add_i32 s14, s14, s19
	s_add_u32 s4, s4, s12
	s_addc_u32 s5, s5, s14
	s_add_u32 s18, s0, s7
	s_addc_u32 s19, s1, s15
	;; [unrolled: 2-line block ×3, first 2 shown]
	s_ashr_i32 s8, s8, 2
	s_cmp_eq_u64 s[2:3], 1
	v_mul_lo_u32 v3, s8, v0
	v_lshlrev_b64 v[0:1], 2, v[1:2]
	v_add_co_u32 v0, vcc_lo, s20, v0
	v_ashrrev_i32_e32 v4, 31, v3
	v_add_co_ci_u32_e64 v1, null, s21, v1, vcc_lo
	v_lshlrev_b64 v[8:9], 2, v[3:4]
	v_add_co_u32 v4, vcc_lo, s18, v8
	v_add_co_ci_u32_e64 v5, null, s19, v9, vcc_lo
	global_load_dwordx4 v[0:3], v[0:1], off
	global_load_dwordx4 v[4:7], v[4:5], off
	s_waitcnt vmcnt(0)
	v_fma_f32 v11, v0, v4, 0
	v_fmac_f32_e32 v11, v1, v5
	v_fmac_f32_e32 v11, v2, v6
	;; [unrolled: 1-line block ×3, first 2 shown]
	v_add_f32_e32 v11, v12, v11
	v_mul_f32_e32 v13, 0xbfb8aa3b, v11
	v_cmp_nlt_f32_e32 vcc_lo, 0x42ce8ed0, v11
	v_fma_f32 v14, 0xbfb8aa3b, v11, -v13
	v_rndne_f32_e32 v15, v13
	v_fmac_f32_e32 v14, 0xb2a5705f, v11
	v_sub_f32_e32 v13, v13, v15
	v_add_f32_e32 v13, v13, v14
	v_cvt_i32_f32_e32 v14, v15
	v_exp_f32_e32 v13, v13
	v_ldexp_f32 v13, v13, v14
	v_cndmask_b32_e32 v13, 0, v13, vcc_lo
	v_cmp_ngt_f32_e32 vcc_lo, 0xc2b17218, v11
	v_cndmask_b32_e32 v13, 0x7f800000, v13, vcc_lo
	v_add_f32_e32 v13, 1.0, v13
	v_div_scale_f32 v14, null, v13, v13, v11
	v_rcp_f32_e32 v15, v14
	v_fma_f32 v16, -v14, v15, 1.0
	v_fmac_f32_e32 v15, v16, v15
	v_div_scale_f32 v16, vcc_lo, v11, v13, v11
	v_mul_f32_e32 v17, v16, v15
	v_fma_f32 v18, -v14, v17, v16
	v_fmac_f32_e32 v17, v18, v15
	v_fma_f32 v14, -v14, v17, v16
	v_div_fmas_f32 v14, v14, v15, v17
	v_div_fixup_f32 v11, v14, v13, v11
	global_store_dword v10, v11, s[4:5]
	s_cbranch_scc1 .LBB2_6
; %bb.4:
	s_ashr_i32 s18, s13, 2
	s_ashr_i32 s19, s18, 31
	s_add_u32 s4, s2, -1
	s_addc_u32 s5, s3, -1
	s_add_u32 s0, s0, s7
	s_addc_u32 s1, s1, s15
	s_add_u32 s0, s0, s11
	s_addc_u32 s1, s1, s6
	s_lshl_b64 s[6:7], s[18:19], 2
	v_add_co_u32 v8, vcc_lo, s0, v8
	s_add_u32 s0, s12, s6
	v_add_co_ci_u32_e64 v9, null, s1, v9, vcc_lo
	s_addc_u32 s1, s14, s7
	s_add_u32 s2, s16, s9
	s_addc_u32 s3, s17, s10
	s_add_u32 s0, s2, s0
	v_add_co_u32 v8, vcc_lo, v8, 16
	s_addc_u32 s1, s3, s1
	v_add_co_u32 v10, s0, s0, v10
	v_add_co_ci_u32_e64 v9, null, 0, v9, vcc_lo
	v_add_co_ci_u32_e64 v11, null, s1, 0, s0
	s_mov_b64 s[10:11], 0
.LBB2_5:                                ; =>This Inner Loop Header: Depth=1
	global_load_dword v13, v[8:9], off
	s_add_u32 s8, s10, 1
	s_addc_u32 s9, s11, 0
	s_add_i32 s0, s10, 4
	s_and_b32 s2, s0, 3
	s_cmp_eq_u32 s2, 3
	s_cselect_b32 vcc_lo, -1, 0
	s_cmp_eq_u32 s2, 2
	s_cselect_b32 s0, -1, 0
	s_cmp_eq_u32 s2, 1
	s_cselect_b32 s1, -1, 0
	;; [unrolled: 2-line block ×3, first 2 shown]
	s_and_b32 s3, s8, 3
	s_cmp_eq_u32 s3, 1
	s_waitcnt vmcnt(0)
	v_cndmask_b32_e64 v5, v5, v13, s1
	v_cndmask_b32_e64 v4, v4, v13, s2
	v_cndmask_b32_e32 v7, v7, v13, vcc_lo
	s_cselect_b32 vcc_lo, -1, 0
	v_cndmask_b32_e64 v6, v6, v13, s0
	s_cmp_eq_u32 s3, 2
	v_cndmask_b32_e32 v14, v4, v5, vcc_lo
	s_cselect_b32 vcc_lo, -1, 0
	s_cmp_eq_u32 s3, 3
	v_cndmask_b32_e32 v14, v14, v6, vcc_lo
	s_cselect_b32 vcc_lo, -1, 0
	s_add_i32 s0, s10, 2
	s_mov_b64 s[10:11], s[8:9]
	s_and_b32 s0, s0, 3
	v_cndmask_b32_e32 v14, v14, v7, vcc_lo
	s_cmp_eq_u32 s0, 1
	s_cselect_b32 vcc_lo, -1, 0
	s_cmp_eq_u32 s0, 2
	v_cndmask_b32_e32 v15, v4, v5, vcc_lo
	s_cselect_b32 vcc_lo, -1, 0
	s_cmp_eq_u32 s0, 3
	v_fma_f32 v14, v0, v14, 0
	v_cndmask_b32_e32 v15, v15, v6, vcc_lo
	s_cselect_b32 vcc_lo, -1, 0
	s_xor_b32 s1, s3, 2
	s_cmp_eq_u32 s1, 1
	v_cndmask_b32_e32 v15, v15, v7, vcc_lo
	s_cselect_b32 s0, -1, 0
	s_cmp_eq_u32 s1, 2
	v_cndmask_b32_e64 v16, v4, v5, s0
	s_cselect_b32 vcc_lo, -1, 0
	s_cmp_eq_u32 s1, 3
	v_fmac_f32_e32 v14, v1, v15
	v_cndmask_b32_e32 v16, v16, v6, vcc_lo
	s_cselect_b32 vcc_lo, -1, 0
	s_cmp_eq_u64 s[4:5], s[8:9]
	v_cndmask_b32_e32 v15, v16, v7, vcc_lo
	v_fmac_f32_e32 v14, v2, v15
	v_fmac_f32_e32 v14, v3, v13
	v_add_f32_e32 v13, v12, v14
	v_mul_f32_e32 v14, 0xbfb8aa3b, v13
	v_cmp_nlt_f32_e32 vcc_lo, 0x42ce8ed0, v13
	v_fma_f32 v15, 0xbfb8aa3b, v13, -v14
	v_rndne_f32_e32 v16, v14
	v_fmac_f32_e32 v15, 0xb2a5705f, v13
	v_sub_f32_e32 v14, v14, v16
	v_add_f32_e32 v14, v14, v15
	v_cvt_i32_f32_e32 v15, v16
	v_exp_f32_e32 v14, v14
	v_ldexp_f32 v14, v14, v15
	v_cndmask_b32_e32 v14, 0, v14, vcc_lo
	v_cmp_ngt_f32_e32 vcc_lo, 0xc2b17218, v13
	v_cndmask_b32_e32 v14, 0x7f800000, v14, vcc_lo
	v_add_co_u32 v8, vcc_lo, v8, 4
	v_add_co_ci_u32_e64 v9, null, 0, v9, vcc_lo
	v_add_f32_e32 v14, 1.0, v14
	v_div_scale_f32 v15, null, v14, v14, v13
	v_div_scale_f32 v17, vcc_lo, v13, v14, v13
	v_rcp_f32_e32 v16, v15
	v_fma_f32 v18, -v15, v16, 1.0
	v_fmac_f32_e32 v16, v18, v16
	v_mul_f32_e32 v18, v17, v16
	v_fma_f32 v19, -v15, v18, v17
	v_fmac_f32_e32 v18, v19, v16
	v_fma_f32 v15, -v15, v18, v17
	v_div_fmas_f32 v15, v15, v16, v18
	v_div_fixup_f32 v13, v15, v14, v13
	global_store_dword v[10:11], v13, off
	v_add_co_u32 v10, vcc_lo, v10, s6
	v_add_co_ci_u32_e64 v11, null, s7, v11, vcc_lo
	s_cbranch_scc0 .LBB2_5
.LBB2_6:
	s_endpgm
	.section	.rodata,"a",@progbits
	.p2align	6, 0x0
	.amdhsa_kernel _ZL12ssm_conv_f32ILb1ELm128ELm4EEvPKfS1_S1_iiiiPfiiil
		.amdhsa_group_segment_fixed_size 0
		.amdhsa_private_segment_fixed_size 0
		.amdhsa_kernarg_size 72
		.amdhsa_user_sgpr_count 6
		.amdhsa_user_sgpr_private_segment_buffer 1
		.amdhsa_user_sgpr_dispatch_ptr 0
		.amdhsa_user_sgpr_queue_ptr 0
		.amdhsa_user_sgpr_kernarg_segment_ptr 1
		.amdhsa_user_sgpr_dispatch_id 0
		.amdhsa_user_sgpr_flat_scratch_init 0
		.amdhsa_user_sgpr_private_segment_size 0
		.amdhsa_wavefront_size32 1
		.amdhsa_uses_dynamic_stack 0
		.amdhsa_system_sgpr_private_segment_wavefront_offset 0
		.amdhsa_system_sgpr_workgroup_id_x 1
		.amdhsa_system_sgpr_workgroup_id_y 1
		.amdhsa_system_sgpr_workgroup_id_z 0
		.amdhsa_system_sgpr_workgroup_info 0
		.amdhsa_system_vgpr_workitem_id 0
		.amdhsa_next_free_vgpr 20
		.amdhsa_next_free_sgpr 23
		.amdhsa_reserve_vcc 1
		.amdhsa_reserve_flat_scratch 0
		.amdhsa_float_round_mode_32 0
		.amdhsa_float_round_mode_16_64 0
		.amdhsa_float_denorm_mode_32 3
		.amdhsa_float_denorm_mode_16_64 3
		.amdhsa_dx10_clamp 1
		.amdhsa_ieee_mode 1
		.amdhsa_fp16_overflow 0
		.amdhsa_workgroup_processor_mode 1
		.amdhsa_memory_ordered 1
		.amdhsa_forward_progress 1
		.amdhsa_shared_vgpr_count 0
		.amdhsa_exception_fp_ieee_invalid_op 0
		.amdhsa_exception_fp_denorm_src 0
		.amdhsa_exception_fp_ieee_div_zero 0
		.amdhsa_exception_fp_ieee_overflow 0
		.amdhsa_exception_fp_ieee_underflow 0
		.amdhsa_exception_fp_ieee_inexact 0
		.amdhsa_exception_int_div_zero 0
	.end_amdhsa_kernel
	.section	.text._ZL12ssm_conv_f32ILb1ELm128ELm4EEvPKfS1_S1_iiiiPfiiil,"axG",@progbits,_ZL12ssm_conv_f32ILb1ELm128ELm4EEvPKfS1_S1_iiiiPfiiil,comdat
.Lfunc_end2:
	.size	_ZL12ssm_conv_f32ILb1ELm128ELm4EEvPKfS1_S1_iiiiPfiiil, .Lfunc_end2-_ZL12ssm_conv_f32ILb1ELm128ELm4EEvPKfS1_S1_iiiiPfiiil
                                        ; -- End function
	.set _ZL12ssm_conv_f32ILb1ELm128ELm4EEvPKfS1_S1_iiiiPfiiil.num_vgpr, 20
	.set _ZL12ssm_conv_f32ILb1ELm128ELm4EEvPKfS1_S1_iiiiPfiiil.num_agpr, 0
	.set _ZL12ssm_conv_f32ILb1ELm128ELm4EEvPKfS1_S1_iiiiPfiiil.numbered_sgpr, 23
	.set _ZL12ssm_conv_f32ILb1ELm128ELm4EEvPKfS1_S1_iiiiPfiiil.num_named_barrier, 0
	.set _ZL12ssm_conv_f32ILb1ELm128ELm4EEvPKfS1_S1_iiiiPfiiil.private_seg_size, 0
	.set _ZL12ssm_conv_f32ILb1ELm128ELm4EEvPKfS1_S1_iiiiPfiiil.uses_vcc, 1
	.set _ZL12ssm_conv_f32ILb1ELm128ELm4EEvPKfS1_S1_iiiiPfiiil.uses_flat_scratch, 0
	.set _ZL12ssm_conv_f32ILb1ELm128ELm4EEvPKfS1_S1_iiiiPfiiil.has_dyn_sized_stack, 0
	.set _ZL12ssm_conv_f32ILb1ELm128ELm4EEvPKfS1_S1_iiiiPfiiil.has_recursion, 0
	.set _ZL12ssm_conv_f32ILb1ELm128ELm4EEvPKfS1_S1_iiiiPfiiil.has_indirect_call, 0
	.section	.AMDGPU.csdata,"",@progbits
; Kernel info:
; codeLenInByte = 1176
; TotalNumSgprs: 25
; NumVgprs: 20
; ScratchSize: 0
; MemoryBound: 0
; FloatMode: 240
; IeeeMode: 1
; LDSByteSize: 0 bytes/workgroup (compile time only)
; SGPRBlocks: 0
; VGPRBlocks: 2
; NumSGPRsForWavesPerEU: 25
; NumVGPRsForWavesPerEU: 20
; Occupancy: 16
; WaveLimiterHint : 0
; COMPUTE_PGM_RSRC2:SCRATCH_EN: 0
; COMPUTE_PGM_RSRC2:USER_SGPR: 6
; COMPUTE_PGM_RSRC2:TRAP_HANDLER: 0
; COMPUTE_PGM_RSRC2:TGID_X_EN: 1
; COMPUTE_PGM_RSRC2:TGID_Y_EN: 1
; COMPUTE_PGM_RSRC2:TGID_Z_EN: 0
; COMPUTE_PGM_RSRC2:TIDIG_COMP_CNT: 0
	.section	.text._ZL23ssm_conv_long_token_f32ILb1ELm128ELm4ELl32EEvPKfS1_S1_iiiiPfiiil,"axG",@progbits,_ZL23ssm_conv_long_token_f32ILb1ELm128ELm4ELl32EEvPKfS1_S1_iiiiPfiiil,comdat
	.globl	_ZL23ssm_conv_long_token_f32ILb1ELm128ELm4ELl32EEvPKfS1_S1_iiiiPfiiil ; -- Begin function _ZL23ssm_conv_long_token_f32ILb1ELm128ELm4ELl32EEvPKfS1_S1_iiiiPfiiil
	.p2align	8
	.type	_ZL23ssm_conv_long_token_f32ILb1ELm128ELm4ELl32EEvPKfS1_S1_iiiiPfiiil,@function
_ZL23ssm_conv_long_token_f32ILb1ELm128ELm4ELl32EEvPKfS1_S1_iiiiPfiiil: ; @_ZL23ssm_conv_long_token_f32ILb1ELm128ELm4ELl32EEvPKfS1_S1_iiiiPfiiil
; %bb.0:
	s_clause 0x1
	s_load_dwordx2 s[12:13], s[4:5], 0x0
	s_load_dwordx4 s[0:3], s[4:5], 0x18
	s_mov_b32 s10, s7
	v_mul_u32_u24_e32 v1, 0x751, v0
	v_lshrrev_b32_e32 v4, 16, v1
	v_mul_lo_u16 v1, v4, 35
	v_sub_nc_u16 v5, v0, v1
	s_waitcnt lgkmcnt(0)
	s_mul_i32 s2, s2, s6
	v_and_b32_e32 v1, 0xffff, v5
	s_ashr_i32 s7, s2, 31
	s_add_u32 s2, s12, s2
	s_addc_u32 s7, s13, s7
	s_ashr_i32 s11, s10, 31
	s_ashr_i32 s9, s1, 31
	s_lshl_b64 s[12:13], s[10:11], 7
	s_lshr_b64 s[10:11], s[10:11], 25
	s_mul_i32 s9, s12, s9
	s_mul_hi_u32 s14, s12, s1
	s_mul_i32 s10, s10, s1
	s_add_i32 s9, s14, s9
	s_add_i32 s9, s9, s10
	s_mul_i32 s10, s12, s1
	s_add_u32 s2, s2, s10
	s_addc_u32 s7, s7, s9
	s_ashr_i32 s9, s8, 31
	s_ashr_i32 s10, s0, 31
	s_lshl_b64 s[14:15], s[8:9], 5
	s_lshr_b64 s[8:9], s[8:9], 27
	s_mul_i32 s10, s14, s10
	s_mul_hi_u32 s11, s14, s0
	s_mul_i32 s8, s8, s0
	s_add_i32 s10, s11, s10
	s_mul_i32 s0, s14, s0
	s_add_i32 s10, s10, s8
	s_add_u32 s0, s2, s0
	s_addc_u32 s2, s7, s10
	s_ashr_i32 s1, s1, 2
	s_mov_b32 s7, exec_lo
	v_mad_u64_u32 v[2:3], null, s1, v4, v[1:2]
	v_lshlrev_b32_e32 v1, 2, v1
	v_ashrrev_i32_e32 v3, 31, v2
	v_lshlrev_b64 v[2:3], 2, v[2:3]
	v_add_co_u32 v2, vcc_lo, s0, v2
	v_add_co_ci_u32_e64 v3, null, s2, v3, vcc_lo
	global_load_dword v2, v[2:3], off
	v_mul_u32_u24_e32 v3, 0x8c, v4
	v_add3_u32 v1, 0, v3, v1
	s_waitcnt vmcnt(0)
	ds_write_b32 v1, v2
	v_or_b32_e32 v1, 0x80, v5
	v_mul_lo_u16 v2, 0xeb, v1
	v_lshrrev_b16 v2, 13, v2
	v_add_nc_u32_sdwa v4, v4, v2 dst_sel:DWORD dst_unused:UNUSED_PAD src0_sel:DWORD src1_sel:WORD_0
	v_mul_lo_u16 v2, v2, 35
	v_sub_nc_u16 v1, v1, v2
	v_and_b32_e32 v1, 0xff, v1
	v_mad_u64_u32 v[2:3], null, v4, s1, v[1:2]
	v_lshlrev_b32_e32 v5, 2, v1
	v_or_b32_e32 v1, 0x80, v1
	v_ashrrev_i32_e32 v3, 31, v2
	v_lshlrev_b64 v[2:3], 2, v[2:3]
	v_add_co_u32 v2, vcc_lo, s0, v2
	v_add_co_ci_u32_e64 v3, null, s2, v3, vcc_lo
	global_load_dword v2, v[2:3], off
	v_mul_u32_u24_e32 v3, 0x8c, v4
	v_add3_u32 v3, 0, v3, v5
	s_waitcnt vmcnt(0)
	ds_write_b32 v3, v2
	v_mul_lo_u16 v2, 0xeb, v1
	v_lshrrev_b16 v2, 13, v2
	v_add_nc_u32_sdwa v4, v4, v2 dst_sel:DWORD dst_unused:UNUSED_PAD src0_sel:DWORD src1_sel:WORD_0
	v_mul_lo_u16 v2, v2, 35
	v_sub_nc_u16 v1, v1, v2
	v_and_b32_e32 v1, 0xff, v1
	v_mad_u64_u32 v[2:3], null, v4, s1, v[1:2]
	v_lshlrev_b32_e32 v5, 2, v1
	v_or_b32_e32 v1, 0x80, v1
	v_ashrrev_i32_e32 v3, 31, v2
	v_lshlrev_b64 v[2:3], 2, v[2:3]
	v_add_co_u32 v2, vcc_lo, s0, v2
	v_add_co_ci_u32_e64 v3, null, s2, v3, vcc_lo
	global_load_dword v2, v[2:3], off
	v_mul_u32_u24_e32 v3, 0x8c, v4
	v_add3_u32 v3, 0, v3, v5
	s_waitcnt vmcnt(0)
	ds_write_b32 v3, v2
	;; [unrolled: 18-line block ×5, first 2 shown]
	v_mul_lo_u16 v2, 0xeb, v1
	v_lshrrev_b16 v2, 13, v2
	v_add_nc_u32_sdwa v4, v4, v2 dst_sel:DWORD dst_unused:UNUSED_PAD src0_sel:DWORD src1_sel:WORD_0
	v_mul_lo_u16 v2, v2, 35
	v_sub_nc_u16 v1, v1, v2
	v_and_b32_e32 v1, 0xff, v1
	v_mad_u64_u32 v[2:3], null, v4, s1, v[1:2]
	v_lshlrev_b32_e32 v5, 2, v1
	v_or_b32_e32 v1, 0x80, v1
	v_ashrrev_i32_e32 v3, 31, v2
	v_lshlrev_b64 v[2:3], 2, v[2:3]
	v_add_co_u32 v2, vcc_lo, s0, v2
	v_add_co_ci_u32_e64 v3, null, s2, v3, vcc_lo
	global_load_dword v2, v[2:3], off
	v_mul_lo_u32 v3, 0x8c, v4
	v_add3_u32 v3, 0, v3, v5
	s_waitcnt vmcnt(0)
	ds_write_b32 v3, v2
	v_mul_lo_u16 v2, 0xeb, v1
	v_lshrrev_b16 v2, 13, v2
	v_add_nc_u32_sdwa v4, v4, v2 dst_sel:DWORD dst_unused:UNUSED_PAD src0_sel:DWORD src1_sel:WORD_0
	v_mul_lo_u16 v2, v2, 35
	v_sub_nc_u16 v1, v1, v2
	v_and_b32_e32 v1, 0xff, v1
	v_mad_u64_u32 v[2:3], null, v4, s1, v[1:2]
	v_lshlrev_b32_e32 v5, 2, v1
	v_or_b32_e32 v1, 0x80, v1
	v_ashrrev_i32_e32 v3, 31, v2
	v_lshlrev_b64 v[2:3], 2, v[2:3]
	v_add_co_u32 v2, vcc_lo, s0, v2
	v_add_co_ci_u32_e64 v3, null, s2, v3, vcc_lo
	global_load_dword v2, v[2:3], off
	v_mul_lo_u32 v3, 0x8c, v4
	v_add3_u32 v3, 0, v3, v5
	s_waitcnt vmcnt(0)
	ds_write_b32 v3, v2
	;; [unrolled: 18-line block ×14, first 2 shown]
	v_mul_lo_u16 v2, 0xeb, v1
	v_lshrrev_b16 v3, 13, v2
	v_add_nc_u32_sdwa v2, v4, v3 dst_sel:DWORD dst_unused:UNUSED_PAD src0_sel:DWORD src1_sel:WORD_0
	v_mul_lo_u16 v3, v3, 35
	v_sub_nc_u16 v1, v1, v3
	v_and_b32_e32 v1, 0xff, v1
	v_cmpx_gt_u32_e32 0x80, v2
	s_cbranch_execz .LBB3_2
; %bb.1:
	v_mad_u64_u32 v[3:4], null, v2, s1, v[1:2]
	v_lshlrev_b32_e32 v5, 2, v1
	v_ashrrev_i32_e32 v4, 31, v3
	v_lshlrev_b64 v[3:4], 2, v[3:4]
	v_add_co_u32 v3, vcc_lo, s0, v3
	v_add_co_ci_u32_e64 v4, null, s2, v4, vcc_lo
	global_load_dword v3, v[3:4], off
	v_mul_lo_u32 v4, 0x8c, v2
	v_add3_u32 v4, 0, v4, v5
	s_waitcnt vmcnt(0)
	ds_write_b32 v4, v3
.LBB3_2:
	s_or_b32 exec_lo, exec_lo, s7
	v_or_b32_e32 v1, 0x80, v1
	s_mov_b32 s7, exec_lo
	v_mul_lo_u16 v3, 0xeb, v1
	v_lshrrev_b16 v3, 13, v3
	v_mul_lo_u16 v4, v3, 35
	v_add_nc_u32_sdwa v2, v2, v3 dst_sel:DWORD dst_unused:UNUSED_PAD src0_sel:DWORD src1_sel:WORD_0
	v_sub_nc_u16 v1, v1, v4
	v_and_b32_e32 v1, 0xff, v1
	v_cmpx_gt_u32_e32 0x80, v2
	s_cbranch_execz .LBB3_4
; %bb.3:
	v_mad_u64_u32 v[3:4], null, v2, s1, v[1:2]
	v_lshlrev_b32_e32 v5, 2, v1
	v_ashrrev_i32_e32 v4, 31, v3
	v_lshlrev_b64 v[3:4], 2, v[3:4]
	v_add_co_u32 v3, vcc_lo, s0, v3
	v_add_co_ci_u32_e64 v4, null, s2, v4, vcc_lo
	global_load_dword v3, v[3:4], off
	v_mul_lo_u32 v4, 0x8c, v2
	v_add3_u32 v4, 0, v4, v5
	s_waitcnt vmcnt(0)
	ds_write_b32 v4, v3
.LBB3_4:
	s_or_b32 exec_lo, exec_lo, s7
	v_or_b32_e32 v1, 0x80, v1
	s_mov_b32 s7, exec_lo
	v_mul_lo_u16 v3, 0xeb, v1
	v_lshrrev_b16 v3, 13, v3
	v_mul_lo_u16 v4, v3, 35
	v_add_nc_u32_sdwa v2, v2, v3 dst_sel:DWORD dst_unused:UNUSED_PAD src0_sel:DWORD src1_sel:WORD_0
	;; [unrolled: 24-line block ×7, first 2 shown]
	v_sub_nc_u16 v1, v1, v4
	v_and_b32_e32 v1, 0xff, v1
	v_cmpx_gt_u32_e32 0x80, v2
	s_cbranch_execz .LBB3_16
; %bb.15:
	v_mad_u64_u32 v[3:4], null, v2, s1, v[1:2]
	v_lshlrev_b32_e32 v5, 2, v1
	v_ashrrev_i32_e32 v4, 31, v3
	v_lshlrev_b64 v[3:4], 2, v[3:4]
	v_add_co_u32 v3, vcc_lo, s0, v3
	v_add_co_ci_u32_e64 v4, null, s2, v4, vcc_lo
	global_load_dword v3, v[3:4], off
	v_mul_lo_u32 v4, 0x8c, v2
	v_add3_u32 v4, 0, v4, v5
	s_waitcnt vmcnt(0)
	ds_write_b32 v4, v3
.LBB3_16:
	s_or_b32 exec_lo, exec_lo, s7
	s_clause 0x1
	s_load_dwordx4 s[8:11], s[4:5], 0x8
	s_load_dwordx2 s[16:17], s[4:5], 0x28
	s_mov_b32 s7, exec_lo
	v_cmpx_gt_u32_e32 0x380, v0
	s_cbranch_execz .LBB3_37
; %bb.17:
	v_or_b32_e32 v1, 0x80, v1
	s_mov_b32 s18, exec_lo
	v_mul_lo_u16 v3, 0xeb, v1
	v_lshrrev_b16 v3, 13, v3
	v_mul_lo_u16 v4, v3, 35
	v_add_nc_u32_sdwa v2, v2, v3 dst_sel:DWORD dst_unused:UNUSED_PAD src0_sel:DWORD src1_sel:WORD_0
	v_sub_nc_u16 v1, v1, v4
	v_and_b32_e32 v1, 0xff, v1
	v_cmpx_gt_u32_e32 0x80, v2
	s_cbranch_execz .LBB3_19
; %bb.18:
	v_mad_u64_u32 v[3:4], null, v2, s1, v[1:2]
	v_lshlrev_b32_e32 v5, 2, v1
	v_ashrrev_i32_e32 v4, 31, v3
	v_lshlrev_b64 v[3:4], 2, v[3:4]
	v_add_co_u32 v3, vcc_lo, s0, v3
	v_add_co_ci_u32_e64 v4, null, s2, v4, vcc_lo
	global_load_dword v3, v[3:4], off
	v_mul_lo_u32 v4, 0x8c, v2
	v_add3_u32 v4, 0, v4, v5
	s_waitcnt vmcnt(0)
	ds_write_b32 v4, v3
.LBB3_19:
	s_or_b32 exec_lo, exec_lo, s18
	v_cmp_gt_u32_e32 vcc_lo, 0x300, v0
	s_and_b32 exec_lo, exec_lo, vcc_lo
	s_cbranch_execz .LBB3_37
; %bb.20:
	v_or_b32_e32 v1, 0x80, v1
	s_mov_b32 s18, exec_lo
	v_mul_lo_u16 v3, 0xeb, v1
	v_lshrrev_b16 v3, 13, v3
	v_mul_lo_u16 v4, v3, 35
	v_add_nc_u32_sdwa v2, v2, v3 dst_sel:DWORD dst_unused:UNUSED_PAD src0_sel:DWORD src1_sel:WORD_0
	v_sub_nc_u16 v1, v1, v4
	v_and_b32_e32 v1, 0xff, v1
	v_cmpx_gt_u32_e32 0x80, v2
	s_cbranch_execz .LBB3_22
; %bb.21:
	v_mad_u64_u32 v[3:4], null, v2, s1, v[1:2]
	v_lshlrev_b32_e32 v5, 2, v1
	v_ashrrev_i32_e32 v4, 31, v3
	v_lshlrev_b64 v[3:4], 2, v[3:4]
	v_add_co_u32 v3, vcc_lo, s0, v3
	v_add_co_ci_u32_e64 v4, null, s2, v4, vcc_lo
	global_load_dword v3, v[3:4], off
	v_mul_lo_u32 v4, 0x8c, v2
	v_add3_u32 v4, 0, v4, v5
	s_waitcnt vmcnt(0)
	ds_write_b32 v4, v3
.LBB3_22:
	s_or_b32 exec_lo, exec_lo, s18
	v_cmp_gt_u32_e32 vcc_lo, 0x280, v0
	s_and_b32 exec_lo, exec_lo, vcc_lo
	;; [unrolled: 28-line block ×6, first 2 shown]
	s_cbranch_execz .LBB3_37
; %bb.35:
	v_or_b32_e32 v3, 0x80, v1
	v_mul_lo_u16 v1, 0xeb, v3
	v_lshrrev_b16 v4, 13, v1
	v_add_nc_u32_sdwa v1, v2, v4 dst_sel:DWORD dst_unused:UNUSED_PAD src0_sel:DWORD src1_sel:WORD_0
	v_cmp_gt_u32_e32 vcc_lo, 0x80, v1
	s_and_b32 exec_lo, exec_lo, vcc_lo
	s_cbranch_execz .LBB3_37
; %bb.36:
	v_mul_lo_u16 v2, v4, 35
	v_sub_nc_u16 v2, v3, v2
	v_and_b32_e32 v2, 0xff, v2
	v_mad_u64_u32 v[3:4], null, v1, s1, v[2:3]
	v_mul_lo_u32 v1, 0x8c, v1
	v_lshlrev_b32_e32 v2, 2, v2
	v_ashrrev_i32_e32 v4, 31, v3
	v_add3_u32 v1, 0, v1, v2
	v_lshlrev_b64 v[3:4], 2, v[3:4]
	v_add_co_u32 v3, vcc_lo, s0, v3
	v_add_co_ci_u32_e64 v4, null, s2, v4, vcc_lo
	global_load_dword v3, v[3:4], off
	s_waitcnt vmcnt(0)
	ds_write_b32 v1, v3
.LBB3_37:
	s_or_b32 exec_lo, exec_lo, s7
	s_ashr_i32 s0, s3, 31
	s_mul_hi_u32 s1, s12, s3
	s_mul_i32 s0, s12, s0
	s_mul_i32 s2, s13, s3
	s_add_i32 s0, s1, s0
	s_mul_i32 s1, s12, s3
	s_add_i32 s0, s0, s2
	s_waitcnt lgkmcnt(0)
	s_add_u32 s1, s8, s1
	s_addc_u32 s0, s9, s0
	s_ashr_i32 s2, s3, 2
	v_mul_lo_u32 v1, s2, v0
	s_barrier
	buffer_gl0_inv
	v_lshlrev_b32_e32 v6, 2, v0
	s_cmp_eq_u64 s[10:11], 0
	v_ashrrev_i32_e32 v2, 31, v1
	v_lshlrev_b64 v[1:2], 2, v[1:2]
	v_add_co_u32 v1, vcc_lo, s1, v1
	v_add_co_ci_u32_e64 v2, null, s0, v2, vcc_lo
	global_load_dwordx4 v[1:4], v[1:2], off
	s_cbranch_scc1 .LBB3_39
; %bb.38:
	s_lshl_b64 s[0:1], s[12:13], 2
	s_add_u32 s0, s10, s0
	s_addc_u32 s1, s11, s1
	global_load_dword v9, v6, s[0:1]
	s_branch .LBB3_40
.LBB3_39:
	v_mov_b32_e32 v9, 0
.LBB3_40:
	s_load_dwordx2 s[0:1], s[4:5], 0x40
	s_waitcnt lgkmcnt(0)
	s_sub_u32 s8, s0, s14
	s_subb_u32 s9, s1, s15
	v_cmp_lt_i64_e64 s0, s[8:9], 1
	s_and_b32 vcc_lo, exec_lo, s0
	s_cbranch_vccnz .LBB3_43
; %bb.41:
	s_load_dwordx4 s[0:3], s[4:5], 0x30
	v_mad_u32_u24 v0, 0x8c, v0, 0
	ds_read_b32 v5, v0
	s_waitcnt lgkmcnt(0)
	s_mul_i32 s2, s2, s6
	s_mul_hi_u32 s5, s14, s1
	s_ashr_i32 s3, s2, 31
	s_add_u32 s2, s16, s2
	s_addc_u32 s3, s17, s3
	s_ashr_i32 s4, s1, 31
	s_mul_i32 s6, s15, s1
	s_mul_i32 s4, s14, s4
	s_add_i32 s4, s5, s4
	s_mul_i32 s5, s14, s1
	s_add_i32 s4, s4, s6
	s_add_u32 s2, s2, s5
	s_addc_u32 s3, s3, s4
	s_ashr_i32 s4, s0, 31
	s_mul_hi_u32 s5, s12, s0
	s_mul_i32 s4, s12, s4
	s_mul_i32 s6, s13, s0
	s_add_i32 s4, s5, s4
	s_mul_i32 s0, s12, s0
	s_add_i32 s4, s4, s6
	s_add_u32 s0, s2, s0
	s_addc_u32 s4, s3, s4
	s_ashr_i32 s2, s1, 2
	v_cmp_lt_u64_e64 s1, s[8:9], 32
	v_add_co_u32 v7, s0, s0, v6
	v_add_co_ci_u32_e64 v8, null, s4, 0, s0
	s_ashr_i32 s3, s2, 31
	s_and_b32 s0, s1, exec_lo
	s_cselect_b32 s1, s9, 0
	s_cselect_b32 s0, s8, 32
	s_lshl_b64 s[2:3], s[2:3], 2
.LBB3_42:                               ; =>This Inner Loop Header: Depth=1
	s_waitcnt vmcnt(0)
	v_fma_f32 v10, v1, v5, 0
	ds_read2_b32 v[5:6], v0 offset0:1 offset1:2
	ds_read_b32 v11, v0 offset:12
	v_add_nc_u32_e32 v0, 4, v0
	s_add_u32 s0, s0, -1
	s_addc_u32 s1, s1, -1
	s_cmp_lg_u64 s[0:1], 0
	s_waitcnt lgkmcnt(1)
	v_fmac_f32_e32 v10, v2, v5
	v_fmac_f32_e32 v10, v3, v6
	s_waitcnt lgkmcnt(0)
	v_fmac_f32_e32 v10, v4, v11
	v_add_f32_e32 v6, v9, v10
	v_mul_f32_e32 v10, 0xbfb8aa3b, v6
	v_cmp_nlt_f32_e32 vcc_lo, 0x42ce8ed0, v6
	v_fma_f32 v11, 0xbfb8aa3b, v6, -v10
	v_rndne_f32_e32 v12, v10
	v_fmac_f32_e32 v11, 0xb2a5705f, v6
	v_sub_f32_e32 v10, v10, v12
	v_add_f32_e32 v10, v10, v11
	v_cvt_i32_f32_e32 v11, v12
	v_exp_f32_e32 v10, v10
	v_ldexp_f32 v10, v10, v11
	v_cndmask_b32_e32 v10, 0, v10, vcc_lo
	v_cmp_ngt_f32_e32 vcc_lo, 0xc2b17218, v6
	v_cndmask_b32_e32 v10, 0x7f800000, v10, vcc_lo
	v_add_f32_e32 v10, 1.0, v10
	v_div_scale_f32 v11, null, v10, v10, v6
	v_div_scale_f32 v13, vcc_lo, v6, v10, v6
	v_rcp_f32_e32 v12, v11
	v_fma_f32 v14, -v11, v12, 1.0
	v_fmac_f32_e32 v12, v14, v12
	v_mul_f32_e32 v14, v13, v12
	v_fma_f32 v15, -v11, v14, v13
	v_fmac_f32_e32 v14, v15, v12
	v_fma_f32 v11, -v11, v14, v13
	v_div_fmas_f32 v11, v11, v12, v14
	v_div_fixup_f32 v6, v11, v10, v6
	global_store_dword v[7:8], v6, off
	v_add_co_u32 v7, vcc_lo, v7, s2
	v_add_co_ci_u32_e64 v8, null, s3, v8, vcc_lo
	s_cbranch_scc1 .LBB3_42
.LBB3_43:
	s_endpgm
	.section	.rodata,"a",@progbits
	.p2align	6, 0x0
	.amdhsa_kernel _ZL23ssm_conv_long_token_f32ILb1ELm128ELm4ELl32EEvPKfS1_S1_iiiiPfiiil
		.amdhsa_group_segment_fixed_size 0
		.amdhsa_private_segment_fixed_size 0
		.amdhsa_kernarg_size 72
		.amdhsa_user_sgpr_count 6
		.amdhsa_user_sgpr_private_segment_buffer 1
		.amdhsa_user_sgpr_dispatch_ptr 0
		.amdhsa_user_sgpr_queue_ptr 0
		.amdhsa_user_sgpr_kernarg_segment_ptr 1
		.amdhsa_user_sgpr_dispatch_id 0
		.amdhsa_user_sgpr_flat_scratch_init 0
		.amdhsa_user_sgpr_private_segment_size 0
		.amdhsa_wavefront_size32 1
		.amdhsa_uses_dynamic_stack 0
		.amdhsa_system_sgpr_private_segment_wavefront_offset 0
		.amdhsa_system_sgpr_workgroup_id_x 1
		.amdhsa_system_sgpr_workgroup_id_y 1
		.amdhsa_system_sgpr_workgroup_id_z 1
		.amdhsa_system_sgpr_workgroup_info 0
		.amdhsa_system_vgpr_workitem_id 0
		.amdhsa_next_free_vgpr 16
		.amdhsa_next_free_sgpr 19
		.amdhsa_reserve_vcc 1
		.amdhsa_reserve_flat_scratch 0
		.amdhsa_float_round_mode_32 0
		.amdhsa_float_round_mode_16_64 0
		.amdhsa_float_denorm_mode_32 3
		.amdhsa_float_denorm_mode_16_64 3
		.amdhsa_dx10_clamp 1
		.amdhsa_ieee_mode 1
		.amdhsa_fp16_overflow 0
		.amdhsa_workgroup_processor_mode 1
		.amdhsa_memory_ordered 1
		.amdhsa_forward_progress 1
		.amdhsa_shared_vgpr_count 0
		.amdhsa_exception_fp_ieee_invalid_op 0
		.amdhsa_exception_fp_denorm_src 0
		.amdhsa_exception_fp_ieee_div_zero 0
		.amdhsa_exception_fp_ieee_overflow 0
		.amdhsa_exception_fp_ieee_underflow 0
		.amdhsa_exception_fp_ieee_inexact 0
		.amdhsa_exception_int_div_zero 0
	.end_amdhsa_kernel
	.section	.text._ZL23ssm_conv_long_token_f32ILb1ELm128ELm4ELl32EEvPKfS1_S1_iiiiPfiiil,"axG",@progbits,_ZL23ssm_conv_long_token_f32ILb1ELm128ELm4ELl32EEvPKfS1_S1_iiiiPfiiil,comdat
.Lfunc_end3:
	.size	_ZL23ssm_conv_long_token_f32ILb1ELm128ELm4ELl32EEvPKfS1_S1_iiiiPfiiil, .Lfunc_end3-_ZL23ssm_conv_long_token_f32ILb1ELm128ELm4ELl32EEvPKfS1_S1_iiiiPfiiil
                                        ; -- End function
	.set _ZL23ssm_conv_long_token_f32ILb1ELm128ELm4ELl32EEvPKfS1_S1_iiiiPfiiil.num_vgpr, 16
	.set _ZL23ssm_conv_long_token_f32ILb1ELm128ELm4ELl32EEvPKfS1_S1_iiiiPfiiil.num_agpr, 0
	.set _ZL23ssm_conv_long_token_f32ILb1ELm128ELm4ELl32EEvPKfS1_S1_iiiiPfiiil.numbered_sgpr, 19
	.set _ZL23ssm_conv_long_token_f32ILb1ELm128ELm4ELl32EEvPKfS1_S1_iiiiPfiiil.num_named_barrier, 0
	.set _ZL23ssm_conv_long_token_f32ILb1ELm128ELm4ELl32EEvPKfS1_S1_iiiiPfiiil.private_seg_size, 0
	.set _ZL23ssm_conv_long_token_f32ILb1ELm128ELm4ELl32EEvPKfS1_S1_iiiiPfiiil.uses_vcc, 1
	.set _ZL23ssm_conv_long_token_f32ILb1ELm128ELm4ELl32EEvPKfS1_S1_iiiiPfiiil.uses_flat_scratch, 0
	.set _ZL23ssm_conv_long_token_f32ILb1ELm128ELm4ELl32EEvPKfS1_S1_iiiiPfiiil.has_dyn_sized_stack, 0
	.set _ZL23ssm_conv_long_token_f32ILb1ELm128ELm4ELl32EEvPKfS1_S1_iiiiPfiiil.has_recursion, 0
	.set _ZL23ssm_conv_long_token_f32ILb1ELm128ELm4ELl32EEvPKfS1_S1_iiiiPfiiil.has_indirect_call, 0
	.section	.AMDGPU.csdata,"",@progbits
; Kernel info:
; codeLenInByte = 6032
; TotalNumSgprs: 21
; NumVgprs: 16
; ScratchSize: 0
; MemoryBound: 0
; FloatMode: 240
; IeeeMode: 1
; LDSByteSize: 0 bytes/workgroup (compile time only)
; SGPRBlocks: 0
; VGPRBlocks: 1
; NumSGPRsForWavesPerEU: 21
; NumVGPRsForWavesPerEU: 16
; Occupancy: 16
; WaveLimiterHint : 0
; COMPUTE_PGM_RSRC2:SCRATCH_EN: 0
; COMPUTE_PGM_RSRC2:USER_SGPR: 6
; COMPUTE_PGM_RSRC2:TRAP_HANDLER: 0
; COMPUTE_PGM_RSRC2:TGID_X_EN: 1
; COMPUTE_PGM_RSRC2:TGID_Y_EN: 1
; COMPUTE_PGM_RSRC2:TGID_Z_EN: 1
; COMPUTE_PGM_RSRC2:TIDIG_COMP_CNT: 0
	.section	.text._ZL12ssm_conv_f32ILb1ELm128ELm5EEvPKfS1_S1_iiiiPfiiil,"axG",@progbits,_ZL12ssm_conv_f32ILb1ELm128ELm5EEvPKfS1_S1_iiiiPfiiil,comdat
	.globl	_ZL12ssm_conv_f32ILb1ELm128ELm5EEvPKfS1_S1_iiiiPfiiil ; -- Begin function _ZL12ssm_conv_f32ILb1ELm128ELm5EEvPKfS1_S1_iiiiPfiiil
	.p2align	8
	.type	_ZL12ssm_conv_f32ILb1ELm128ELm5EEvPKfS1_S1_iiiiPfiiil,@function
_ZL12ssm_conv_f32ILb1ELm128ELm5EEvPKfS1_S1_iiiiPfiiil: ; @_ZL12ssm_conv_f32ILb1ELm128ELm5EEvPKfS1_S1_iiiiPfiiil
; %bb.0:
	s_clause 0x2
	s_load_dwordx4 s[12:15], s[4:5], 0x1c
	s_load_dwordx4 s[0:3], s[4:5], 0x0
	s_load_dwordx2 s[8:9], s[4:5], 0x10
	s_mov_b32 s10, s7
	s_ashr_i32 s11, s7, 31
	v_lshlrev_b32_e32 v10, 2, v0
	s_lshl_b64 s[18:19], s[10:11], 7
	s_lshr_b64 s[10:11], s[10:11], 25
	s_waitcnt lgkmcnt(0)
	s_ashr_i32 s7, s14, 31
	s_mul_hi_u32 s11, s18, s14
	s_mul_i32 s7, s18, s7
	s_mul_i32 s10, s10, s14
	s_add_i32 s7, s11, s7
	s_mul_i32 s11, s18, s14
	s_add_i32 s7, s7, s10
	s_add_u32 s20, s2, s11
	s_addc_u32 s21, s3, s7
	s_cmp_eq_u64 s[8:9], 0
	s_cbranch_scc1 .LBB4_2
; %bb.1:
	s_lshl_b64 s[2:3], s[18:19], 2
	s_add_u32 s2, s8, s2
	s_addc_u32 s3, s9, s3
	global_load_dword v12, v10, s[2:3]
	s_load_dwordx2 s[2:3], s[4:5], 0x40
	s_waitcnt lgkmcnt(0)
	v_cmp_lt_i64_e64 s7, s[2:3], 1
	s_and_b32 vcc_lo, exec_lo, s7
	s_cbranch_vccz .LBB4_3
	s_branch .LBB4_6
.LBB4_2:
	v_mov_b32_e32 v12, 0
	s_load_dwordx2 s[2:3], s[4:5], 0x40
	s_waitcnt lgkmcnt(0)
	v_cmp_lt_i64_e64 s7, s[2:3], 1
	s_and_b32 vcc_lo, exec_lo, s7
	s_cbranch_vccnz .LBB4_6
.LBB4_3:
	s_clause 0x1
	s_load_dwordx4 s[8:11], s[4:5], 0x30
	s_load_dwordx2 s[16:17], s[4:5], 0x28
	s_ashr_i32 s4, s14, 2
	s_ashr_i32 s5, s12, 31
	s_waitcnt lgkmcnt(0)
	s_mul_hi_u32 s11, s18, s12
	v_mul_lo_u32 v1, s4, v0
	s_mul_i32 s4, s18, s5
	s_mul_i32 s7, s13, s6
	;; [unrolled: 1-line block ×3, first 2 shown]
	s_add_i32 s4, s11, s4
	s_ashr_i32 s14, s7, 31
	s_mul_i32 s13, s18, s12
	v_ashrrev_i32_e32 v2, 31, v1
	s_mul_i32 s10, s10, s6
	s_add_i32 s6, s4, s15
	s_ashr_i32 s11, s10, 31
	s_add_u32 s4, s16, s10
	s_addc_u32 s5, s17, s11
	s_ashr_i32 s15, s8, 31
	s_mul_hi_u32 s22, s18, s8
	s_mul_i32 s15, s18, s15
	s_mul_i32 s19, s19, s8
	s_add_i32 s15, s22, s15
	s_mul_i32 s8, s18, s8
	s_add_i32 s15, s15, s19
	s_add_u32 s4, s4, s8
	s_addc_u32 s5, s5, s15
	s_add_u32 s18, s0, s7
	s_addc_u32 s19, s1, s14
	s_add_u32 s18, s18, s13
	s_addc_u32 s19, s19, s6
	s_ashr_i32 s12, s12, 2
	s_cmp_eq_u64 s[2:3], 1
	v_mul_lo_u32 v3, s12, v0
	v_lshlrev_b64 v[0:1], 2, v[1:2]
	v_add_co_u32 v14, vcc_lo, s20, v0
	v_ashrrev_i32_e32 v4, 31, v3
	v_add_co_ci_u32_e64 v15, null, s21, v1, vcc_lo
	v_lshlrev_b64 v[8:9], 2, v[3:4]
	v_add_co_u32 v16, vcc_lo, s18, v8
	v_add_co_ci_u32_e64 v17, null, s19, v9, vcc_lo
	global_load_dwordx4 v[0:3], v[14:15], off
	s_clause 0x1
	global_load_dwordx4 v[4:7], v[16:17], off
	global_load_dword v13, v[16:17], off offset:16
	global_load_dword v14, v[14:15], off offset:16
	s_waitcnt vmcnt(2)
	v_fma_f32 v11, v0, v4, 0
	v_fmac_f32_e32 v11, v1, v5
	v_fmac_f32_e32 v11, v2, v6
	;; [unrolled: 1-line block ×3, first 2 shown]
	s_waitcnt vmcnt(0)
	v_fmac_f32_e32 v11, v14, v13
	v_add_f32_e32 v11, v12, v11
	v_mul_f32_e32 v15, 0xbfb8aa3b, v11
	v_cmp_nlt_f32_e32 vcc_lo, 0x42ce8ed0, v11
	v_fma_f32 v16, 0xbfb8aa3b, v11, -v15
	v_rndne_f32_e32 v17, v15
	v_fmac_f32_e32 v16, 0xb2a5705f, v11
	v_sub_f32_e32 v15, v15, v17
	v_add_f32_e32 v15, v15, v16
	v_cvt_i32_f32_e32 v16, v17
	v_exp_f32_e32 v15, v15
	v_ldexp_f32 v15, v15, v16
	v_cndmask_b32_e32 v15, 0, v15, vcc_lo
	v_cmp_ngt_f32_e32 vcc_lo, 0xc2b17218, v11
	v_cndmask_b32_e32 v15, 0x7f800000, v15, vcc_lo
	v_add_f32_e32 v15, 1.0, v15
	v_div_scale_f32 v16, null, v15, v15, v11
	v_rcp_f32_e32 v17, v16
	v_fma_f32 v18, -v16, v17, 1.0
	v_fmac_f32_e32 v17, v18, v17
	v_div_scale_f32 v18, vcc_lo, v11, v15, v11
	v_mul_f32_e32 v19, v18, v17
	v_fma_f32 v20, -v16, v19, v18
	v_fmac_f32_e32 v19, v20, v17
	v_fma_f32 v16, -v16, v19, v18
	v_div_fmas_f32 v16, v16, v17, v19
	v_div_fixup_f32 v11, v16, v15, v11
	global_store_dword v10, v11, s[4:5]
	s_cbranch_scc1 .LBB4_6
; %bb.4:
	s_ashr_i32 s18, s9, 2
	s_ashr_i32 s19, s18, 31
	s_add_u32 s4, s2, -1
	s_addc_u32 s5, s3, -1
	s_add_u32 s0, s0, s7
	s_addc_u32 s1, s1, s14
	s_add_u32 s0, s0, s13
	s_addc_u32 s1, s1, s6
	s_lshl_b64 s[6:7], s[18:19], 2
	v_add_co_u32 v8, vcc_lo, s0, v8
	s_add_u32 s0, s8, s6
	v_add_co_ci_u32_e64 v9, null, s1, v9, vcc_lo
	s_addc_u32 s1, s15, s7
	s_add_u32 s2, s16, s10
	s_addc_u32 s3, s17, s11
	s_add_u32 s0, s2, s0
	v_add_co_u32 v8, vcc_lo, v8, 20
	s_addc_u32 s1, s3, s1
	v_add_co_u32 v10, s0, s0, v10
	v_add_co_ci_u32_e64 v9, null, 0, v9, vcc_lo
	v_add_co_ci_u32_e64 v11, null, s1, 0, s0
	s_mov_b64 s[8:9], 1
	s_mov_b64 s[10:11], 5
	;; [unrolled: 1-line block ×6, first 2 shown]
.LBB4_5:                                ; =>This Inner Loop Header: Depth=1
	global_load_dword v15, v[8:9], off
	s_mul_i32 s22, s9, 0xcccccccd
	s_mul_hi_u32 s23, s8, 0xcccccccd
	s_mul_hi_u32 s21, s9, 0xcccccccd
	s_mul_i32 s20, s8, 0xcccccccc
	s_add_u32 s22, s22, s23
	s_mul_hi_u32 s3, s8, 0xcccccccc
	s_addc_u32 s21, s21, 0
	s_add_u32 s20, s20, s22
	s_addc_u32 s3, s3, 0
	s_mul_i32 s25, s9, 0xcccccccc
	s_add_u32 s3, s21, s3
	s_mul_hi_u32 s24, s9, 0xcccccccc
	s_addc_u32 s21, 0, 0
	s_add_u32 s20, s25, s3
	s_addc_u32 s21, s24, s21
	s_mul_i32 s29, s11, 0xcccccccd
	s_lshr_b64 s[20:21], s[20:21], 2
	s_mul_hi_u32 s30, s10, 0xcccccccd
	s_mul_i32 s3, s20, 5
	s_mul_hi_u32 s28, s11, 0xcccccccd
	s_sub_i32 s22, s8, s3
	s_mul_i32 s27, s10, 0xcccccccc
	s_add_u32 s3, s29, s30
	s_mul_hi_u32 s26, s10, 0xcccccccc
	s_addc_u32 s20, s28, 0
	s_add_u32 s3, s27, s3
	s_addc_u32 s3, s26, 0
	s_mul_i32 s33, s11, 0xcccccccc
	s_add_u32 s3, s20, s3
	s_mul_hi_u32 s31, s11, 0xcccccccc
	s_addc_u32 s21, 0, 0
	s_add_u32 s20, s33, s3
	s_addc_u32 s21, s31, s21
	s_mul_i32 s37, s13, 0xcccccccd
	s_lshr_b64 s[20:21], s[20:21], 2
	s_mul_hi_u32 s38, s12, 0xcccccccd
	s_mul_i32 s3, s20, 5
	s_mul_hi_u32 s36, s13, 0xcccccccd
	s_sub_i32 s23, s10, s3
	;; [unrolled: 18-line block ×5, first 2 shown]
	s_mul_i32 s2, s18, 0xcccccccc
	s_add_u32 s3, s56, s57
	s_mul_hi_u32 s0, s18, 0xcccccccc
	s_addc_u32 s21, s55, 0
	s_add_u32 s2, s2, s3
	s_addc_u32 s0, s0, 0
	s_mul_i32 s58, s19, 0xcccccccc
	s_add_u32 s0, s21, s0
	s_mul_hi_u32 s1, s19, 0xcccccccc
	s_addc_u32 s2, 0, 0
	s_add_u32 s0, s58, s0
	s_addc_u32 s1, s1, s2
	v_add_co_u32 v8, vcc_lo, v8, 4
	s_lshr_b64 s[0:1], s[0:1], 2
	v_add_co_ci_u32_e64 v9, null, 0, v9, vcc_lo
	s_mul_i32 s0, s0, 5
	s_sub_i32 s3, s18, s0
	s_cmp_eq_u32 s3, 4
	s_cselect_b32 vcc_lo, -1, 0
	s_cmp_eq_u32 s3, 3
	s_cselect_b32 s0, -1, 0
	s_cmp_eq_u32 s3, 2
	s_cselect_b32 s1, -1, 0
	s_cmp_eq_u32 s3, 1
	s_cselect_b32 s2, -1, 0
	s_cmp_eq_u32 s3, 0
	s_cselect_b32 s3, -1, 0
	s_cmp_eq_u32 s22, 1
	s_waitcnt vmcnt(0)
	v_cndmask_b32_e64 v5, v5, v15, s2
	v_cndmask_b32_e64 v4, v4, v15, s3
	v_cndmask_b32_e32 v13, v13, v15, vcc_lo
	s_cselect_b32 vcc_lo, -1, 0
	v_cndmask_b32_e64 v7, v7, v15, s0
	v_cndmask_b32_e64 v6, v6, v15, s1
	v_cndmask_b32_e32 v15, v4, v5, vcc_lo
	s_cmp_eq_u32 s22, 2
	s_cselect_b32 vcc_lo, -1, 0
	s_cmp_eq_u32 s22, 3
	v_cndmask_b32_e32 v15, v15, v6, vcc_lo
	s_cselect_b32 vcc_lo, -1, 0
	s_cmp_eq_u32 s22, 4
	v_cndmask_b32_e32 v15, v15, v7, vcc_lo
	s_cselect_b32 vcc_lo, -1, 0
	s_add_u32 s8, s8, 1
	s_addc_u32 s9, s9, 0
	s_cmp_eq_u32 s20, 1
	v_cndmask_b32_e32 v15, v15, v13, vcc_lo
	s_cselect_b32 s0, -1, 0
	s_cmp_eq_u32 s20, 2
	v_cndmask_b32_e64 v16, v4, v5, s0
	s_cselect_b32 vcc_lo, -1, 0
	s_cmp_eq_u32 s20, 3
	v_fma_f32 v15, v0, v15, 0
	v_cndmask_b32_e32 v16, v16, v6, vcc_lo
	s_cselect_b32 vcc_lo, -1, 0
	s_cmp_eq_u32 s20, 4
	v_cndmask_b32_e32 v16, v16, v7, vcc_lo
	s_cselect_b32 vcc_lo, -1, 0
	s_cmp_eq_u32 s25, 1
	s_cselect_b32 s0, -1, 0
	s_cmp_eq_u32 s25, 2
	v_cndmask_b32_e64 v17, v4, v5, s0
	s_cselect_b32 s0, -1, 0
	v_cndmask_b32_e32 v16, v16, v13, vcc_lo
	s_cmp_eq_u32 s25, 3
	v_cndmask_b32_e64 v17, v17, v6, s0
	s_cselect_b32 vcc_lo, -1, 0
	s_cmp_eq_u32 s25, 4
	v_fmac_f32_e32 v15, v1, v16
	v_cndmask_b32_e32 v16, v17, v7, vcc_lo
	s_cselect_b32 vcc_lo, -1, 0
	s_cmp_eq_u32 s24, 1
	s_cselect_b32 s0, -1, 0
	s_cmp_eq_u32 s24, 2
	v_cndmask_b32_e64 v17, v4, v5, s0
	s_cselect_b32 s0, -1, 0
	v_cndmask_b32_e32 v16, v16, v13, vcc_lo
	s_cmp_eq_u32 s24, 3
	v_cndmask_b32_e64 v17, v17, v6, s0
	s_cselect_b32 vcc_lo, -1, 0
	s_cmp_eq_u32 s24, 4
	v_fmac_f32_e32 v15, v2, v16
	v_cndmask_b32_e32 v16, v17, v7, vcc_lo
	s_cselect_b32 vcc_lo, -1, 0
	s_cmp_eq_u32 s23, 1
	s_cselect_b32 s0, -1, 0
	s_cmp_eq_u32 s23, 2
	v_cndmask_b32_e64 v17, v4, v5, s0
	s_cselect_b32 s0, -1, 0
	v_cndmask_b32_e32 v16, v16, v13, vcc_lo
	s_cmp_eq_u32 s23, 3
	v_cndmask_b32_e64 v17, v17, v6, s0
	s_cselect_b32 vcc_lo, -1, 0
	v_fmac_f32_e32 v15, v3, v16
	s_cmp_eq_u32 s23, 4
	v_cndmask_b32_e32 v16, v17, v7, vcc_lo
	s_cselect_b32 vcc_lo, -1, 0
	s_add_u32 s10, s10, 1
	s_addc_u32 s11, s11, 0
	s_add_u32 s12, s12, 1
	v_cndmask_b32_e32 v16, v16, v13, vcc_lo
	s_addc_u32 s13, s13, 0
	s_add_u32 s14, s14, 1
	s_addc_u32 s15, s15, 0
	s_add_u32 s4, s4, -1
	v_fmac_f32_e32 v15, v14, v16
	s_addc_u32 s5, s5, -1
	s_add_u32 s16, s16, 1
	s_addc_u32 s17, s17, 0
	s_add_u32 s18, s18, 1
	v_add_f32_e32 v15, v12, v15
	s_addc_u32 s19, s19, 0
	s_cmp_eq_u64 s[4:5], 0
	v_mul_f32_e32 v16, 0xbfb8aa3b, v15
	v_cmp_nlt_f32_e32 vcc_lo, 0x42ce8ed0, v15
	v_fma_f32 v17, 0xbfb8aa3b, v15, -v16
	v_rndne_f32_e32 v18, v16
	v_fmac_f32_e32 v17, 0xb2a5705f, v15
	v_sub_f32_e32 v16, v16, v18
	v_add_f32_e32 v16, v16, v17
	v_cvt_i32_f32_e32 v17, v18
	v_exp_f32_e32 v16, v16
	v_ldexp_f32 v16, v16, v17
	v_cndmask_b32_e32 v16, 0, v16, vcc_lo
	v_cmp_ngt_f32_e32 vcc_lo, 0xc2b17218, v15
	v_cndmask_b32_e32 v16, 0x7f800000, v16, vcc_lo
	v_add_f32_e32 v16, 1.0, v16
	v_div_scale_f32 v17, null, v16, v16, v15
	v_div_scale_f32 v19, vcc_lo, v15, v16, v15
	v_rcp_f32_e32 v18, v17
	v_fma_f32 v20, -v17, v18, 1.0
	v_fmac_f32_e32 v18, v20, v18
	v_mul_f32_e32 v20, v19, v18
	v_fma_f32 v21, -v17, v20, v19
	v_fmac_f32_e32 v20, v21, v18
	v_fma_f32 v17, -v17, v20, v19
	v_div_fmas_f32 v17, v17, v18, v20
	v_div_fixup_f32 v15, v17, v16, v15
	global_store_dword v[10:11], v15, off
	v_add_co_u32 v10, vcc_lo, v10, s6
	v_add_co_ci_u32_e64 v11, null, s7, v11, vcc_lo
	s_cbranch_scc0 .LBB4_5
.LBB4_6:
	s_endpgm
	.section	.rodata,"a",@progbits
	.p2align	6, 0x0
	.amdhsa_kernel _ZL12ssm_conv_f32ILb1ELm128ELm5EEvPKfS1_S1_iiiiPfiiil
		.amdhsa_group_segment_fixed_size 0
		.amdhsa_private_segment_fixed_size 0
		.amdhsa_kernarg_size 72
		.amdhsa_user_sgpr_count 6
		.amdhsa_user_sgpr_private_segment_buffer 1
		.amdhsa_user_sgpr_dispatch_ptr 0
		.amdhsa_user_sgpr_queue_ptr 0
		.amdhsa_user_sgpr_kernarg_segment_ptr 1
		.amdhsa_user_sgpr_dispatch_id 0
		.amdhsa_user_sgpr_flat_scratch_init 0
		.amdhsa_user_sgpr_private_segment_size 0
		.amdhsa_wavefront_size32 1
		.amdhsa_uses_dynamic_stack 0
		.amdhsa_system_sgpr_private_segment_wavefront_offset 0
		.amdhsa_system_sgpr_workgroup_id_x 1
		.amdhsa_system_sgpr_workgroup_id_y 1
		.amdhsa_system_sgpr_workgroup_id_z 0
		.amdhsa_system_sgpr_workgroup_info 0
		.amdhsa_system_vgpr_workitem_id 0
		.amdhsa_next_free_vgpr 22
		.amdhsa_next_free_sgpr 59
		.amdhsa_reserve_vcc 1
		.amdhsa_reserve_flat_scratch 0
		.amdhsa_float_round_mode_32 0
		.amdhsa_float_round_mode_16_64 0
		.amdhsa_float_denorm_mode_32 3
		.amdhsa_float_denorm_mode_16_64 3
		.amdhsa_dx10_clamp 1
		.amdhsa_ieee_mode 1
		.amdhsa_fp16_overflow 0
		.amdhsa_workgroup_processor_mode 1
		.amdhsa_memory_ordered 1
		.amdhsa_forward_progress 1
		.amdhsa_shared_vgpr_count 0
		.amdhsa_exception_fp_ieee_invalid_op 0
		.amdhsa_exception_fp_denorm_src 0
		.amdhsa_exception_fp_ieee_div_zero 0
		.amdhsa_exception_fp_ieee_overflow 0
		.amdhsa_exception_fp_ieee_underflow 0
		.amdhsa_exception_fp_ieee_inexact 0
		.amdhsa_exception_int_div_zero 0
	.end_amdhsa_kernel
	.section	.text._ZL12ssm_conv_f32ILb1ELm128ELm5EEvPKfS1_S1_iiiiPfiiil,"axG",@progbits,_ZL12ssm_conv_f32ILb1ELm128ELm5EEvPKfS1_S1_iiiiPfiiil,comdat
.Lfunc_end4:
	.size	_ZL12ssm_conv_f32ILb1ELm128ELm5EEvPKfS1_S1_iiiiPfiiil, .Lfunc_end4-_ZL12ssm_conv_f32ILb1ELm128ELm5EEvPKfS1_S1_iiiiPfiiil
                                        ; -- End function
	.set _ZL12ssm_conv_f32ILb1ELm128ELm5EEvPKfS1_S1_iiiiPfiiil.num_vgpr, 22
	.set _ZL12ssm_conv_f32ILb1ELm128ELm5EEvPKfS1_S1_iiiiPfiiil.num_agpr, 0
	.set _ZL12ssm_conv_f32ILb1ELm128ELm5EEvPKfS1_S1_iiiiPfiiil.numbered_sgpr, 59
	.set _ZL12ssm_conv_f32ILb1ELm128ELm5EEvPKfS1_S1_iiiiPfiiil.num_named_barrier, 0
	.set _ZL12ssm_conv_f32ILb1ELm128ELm5EEvPKfS1_S1_iiiiPfiiil.private_seg_size, 0
	.set _ZL12ssm_conv_f32ILb1ELm128ELm5EEvPKfS1_S1_iiiiPfiiil.uses_vcc, 1
	.set _ZL12ssm_conv_f32ILb1ELm128ELm5EEvPKfS1_S1_iiiiPfiiil.uses_flat_scratch, 0
	.set _ZL12ssm_conv_f32ILb1ELm128ELm5EEvPKfS1_S1_iiiiPfiiil.has_dyn_sized_stack, 0
	.set _ZL12ssm_conv_f32ILb1ELm128ELm5EEvPKfS1_S1_iiiiPfiiil.has_recursion, 0
	.set _ZL12ssm_conv_f32ILb1ELm128ELm5EEvPKfS1_S1_iiiiPfiiil.has_indirect_call, 0
	.section	.AMDGPU.csdata,"",@progbits
; Kernel info:
; codeLenInByte = 2020
; TotalNumSgprs: 61
; NumVgprs: 22
; ScratchSize: 0
; MemoryBound: 0
; FloatMode: 240
; IeeeMode: 1
; LDSByteSize: 0 bytes/workgroup (compile time only)
; SGPRBlocks: 0
; VGPRBlocks: 2
; NumSGPRsForWavesPerEU: 61
; NumVGPRsForWavesPerEU: 22
; Occupancy: 16
; WaveLimiterHint : 0
; COMPUTE_PGM_RSRC2:SCRATCH_EN: 0
; COMPUTE_PGM_RSRC2:USER_SGPR: 6
; COMPUTE_PGM_RSRC2:TRAP_HANDLER: 0
; COMPUTE_PGM_RSRC2:TGID_X_EN: 1
; COMPUTE_PGM_RSRC2:TGID_Y_EN: 1
; COMPUTE_PGM_RSRC2:TGID_Z_EN: 0
; COMPUTE_PGM_RSRC2:TIDIG_COMP_CNT: 0
	.section	.text._ZL23ssm_conv_long_token_f32ILb1ELm128ELm5ELl32EEvPKfS1_S1_iiiiPfiiil,"axG",@progbits,_ZL23ssm_conv_long_token_f32ILb1ELm128ELm5ELl32EEvPKfS1_S1_iiiiPfiiil,comdat
	.globl	_ZL23ssm_conv_long_token_f32ILb1ELm128ELm5ELl32EEvPKfS1_S1_iiiiPfiiil ; -- Begin function _ZL23ssm_conv_long_token_f32ILb1ELm128ELm5ELl32EEvPKfS1_S1_iiiiPfiiil
	.p2align	8
	.type	_ZL23ssm_conv_long_token_f32ILb1ELm128ELm5ELl32EEvPKfS1_S1_iiiiPfiiil,@function
_ZL23ssm_conv_long_token_f32ILb1ELm128ELm5ELl32EEvPKfS1_S1_iiiiPfiiil: ; @_ZL23ssm_conv_long_token_f32ILb1ELm128ELm5ELl32EEvPKfS1_S1_iiiiPfiiil
; %bb.0:
	s_clause 0x1
	s_load_dwordx2 s[12:13], s[4:5], 0x0
	s_load_dwordx4 s[0:3], s[4:5], 0x18
	s_mov_b32 s10, s7
	v_mul_u32_u24_e32 v1, 0x71d, v0
	v_lshrrev_b32_e32 v4, 16, v1
	v_mul_lo_u16 v1, v4, 36
	v_sub_nc_u16 v5, v0, v1
	s_waitcnt lgkmcnt(0)
	s_mul_i32 s2, s2, s6
	v_and_b32_e32 v1, 0xffff, v5
	s_ashr_i32 s7, s2, 31
	s_add_u32 s2, s12, s2
	s_addc_u32 s7, s13, s7
	s_ashr_i32 s11, s10, 31
	s_ashr_i32 s9, s1, 31
	s_lshl_b64 s[12:13], s[10:11], 7
	s_lshr_b64 s[10:11], s[10:11], 25
	s_mul_i32 s9, s12, s9
	s_mul_hi_u32 s14, s12, s1
	s_mul_i32 s10, s10, s1
	s_add_i32 s9, s14, s9
	s_add_i32 s9, s9, s10
	s_mul_i32 s10, s12, s1
	s_add_u32 s2, s2, s10
	s_addc_u32 s7, s7, s9
	s_ashr_i32 s9, s8, 31
	s_ashr_i32 s10, s0, 31
	s_lshl_b64 s[14:15], s[8:9], 5
	s_lshr_b64 s[8:9], s[8:9], 27
	s_mul_i32 s10, s14, s10
	s_mul_hi_u32 s11, s14, s0
	s_mul_i32 s8, s8, s0
	s_add_i32 s10, s11, s10
	s_mul_i32 s0, s14, s0
	s_add_i32 s10, s10, s8
	s_add_u32 s0, s2, s0
	s_addc_u32 s2, s7, s10
	s_ashr_i32 s1, s1, 2
	s_mov_b32 s7, exec_lo
	v_mad_u64_u32 v[2:3], null, s1, v4, v[1:2]
	v_lshlrev_b32_e32 v1, 2, v1
	v_ashrrev_i32_e32 v3, 31, v2
	v_lshlrev_b64 v[2:3], 2, v[2:3]
	v_add_co_u32 v2, vcc_lo, s0, v2
	v_add_co_ci_u32_e64 v3, null, s2, v3, vcc_lo
	global_load_dword v2, v[2:3], off
	v_mul_u32_u24_e32 v3, 0x90, v4
	v_add3_u32 v1, 0, v3, v1
	s_waitcnt vmcnt(0)
	ds_write_b32 v1, v2
	v_or_b32_e32 v1, 0x80, v5
	v_mul_lo_u16 v2, v1, 57
	v_lshrrev_b16 v2, 11, v2
	v_add_nc_u32_sdwa v4, v4, v2 dst_sel:DWORD dst_unused:UNUSED_PAD src0_sel:DWORD src1_sel:WORD_0
	v_mul_lo_u16 v2, v2, 36
	v_sub_nc_u16 v1, v1, v2
	v_and_b32_e32 v1, 0xff, v1
	v_mad_u64_u32 v[2:3], null, v4, s1, v[1:2]
	v_lshlrev_b32_e32 v5, 2, v1
	v_or_b32_e32 v1, 0x80, v1
	v_ashrrev_i32_e32 v3, 31, v2
	v_lshlrev_b64 v[2:3], 2, v[2:3]
	v_add_co_u32 v2, vcc_lo, s0, v2
	v_add_co_ci_u32_e64 v3, null, s2, v3, vcc_lo
	global_load_dword v2, v[2:3], off
	v_mul_u32_u24_e32 v3, 0x90, v4
	v_add3_u32 v3, 0, v3, v5
	s_waitcnt vmcnt(0)
	ds_write_b32 v3, v2
	v_mul_lo_u16 v2, v1, 57
	v_lshrrev_b16 v2, 11, v2
	v_add_nc_u32_sdwa v4, v4, v2 dst_sel:DWORD dst_unused:UNUSED_PAD src0_sel:DWORD src1_sel:WORD_0
	v_mul_lo_u16 v2, v2, 36
	v_sub_nc_u16 v1, v1, v2
	v_and_b32_e32 v1, 0xff, v1
	v_mad_u64_u32 v[2:3], null, v4, s1, v[1:2]
	v_lshlrev_b32_e32 v5, 2, v1
	v_or_b32_e32 v1, 0x80, v1
	v_ashrrev_i32_e32 v3, 31, v2
	v_lshlrev_b64 v[2:3], 2, v[2:3]
	v_add_co_u32 v2, vcc_lo, s0, v2
	v_add_co_ci_u32_e64 v3, null, s2, v3, vcc_lo
	global_load_dword v2, v[2:3], off
	v_mul_u32_u24_e32 v3, 0x90, v4
	v_add3_u32 v3, 0, v3, v5
	s_waitcnt vmcnt(0)
	ds_write_b32 v3, v2
	;; [unrolled: 18-line block ×5, first 2 shown]
	v_mul_lo_u16 v2, v1, 57
	v_lshrrev_b16 v2, 11, v2
	v_add_nc_u32_sdwa v4, v4, v2 dst_sel:DWORD dst_unused:UNUSED_PAD src0_sel:DWORD src1_sel:WORD_0
	v_mul_lo_u16 v2, v2, 36
	v_sub_nc_u16 v1, v1, v2
	v_and_b32_e32 v1, 0xff, v1
	v_mad_u64_u32 v[2:3], null, v4, s1, v[1:2]
	v_lshlrev_b32_e32 v5, 2, v1
	v_or_b32_e32 v1, 0x80, v1
	v_ashrrev_i32_e32 v3, 31, v2
	v_lshlrev_b64 v[2:3], 2, v[2:3]
	v_add_co_u32 v2, vcc_lo, s0, v2
	v_add_co_ci_u32_e64 v3, null, s2, v3, vcc_lo
	global_load_dword v2, v[2:3], off
	v_mul_lo_u32 v3, 0x90, v4
	v_add3_u32 v3, 0, v3, v5
	s_waitcnt vmcnt(0)
	ds_write_b32 v3, v2
	v_mul_lo_u16 v2, v1, 57
	v_lshrrev_b16 v2, 11, v2
	v_add_nc_u32_sdwa v4, v4, v2 dst_sel:DWORD dst_unused:UNUSED_PAD src0_sel:DWORD src1_sel:WORD_0
	v_mul_lo_u16 v2, v2, 36
	v_sub_nc_u16 v1, v1, v2
	v_and_b32_e32 v1, 0xff, v1
	v_mad_u64_u32 v[2:3], null, v4, s1, v[1:2]
	v_lshlrev_b32_e32 v5, 2, v1
	v_or_b32_e32 v1, 0x80, v1
	v_ashrrev_i32_e32 v3, 31, v2
	v_lshlrev_b64 v[2:3], 2, v[2:3]
	v_add_co_u32 v2, vcc_lo, s0, v2
	v_add_co_ci_u32_e64 v3, null, s2, v3, vcc_lo
	global_load_dword v2, v[2:3], off
	v_mul_lo_u32 v3, 0x90, v4
	v_add3_u32 v3, 0, v3, v5
	s_waitcnt vmcnt(0)
	ds_write_b32 v3, v2
	;; [unrolled: 18-line block ×14, first 2 shown]
	v_mul_lo_u16 v2, v1, 57
	v_lshrrev_b16 v3, 11, v2
	v_add_nc_u32_sdwa v2, v4, v3 dst_sel:DWORD dst_unused:UNUSED_PAD src0_sel:DWORD src1_sel:WORD_0
	v_mul_lo_u16 v3, v3, 36
	v_sub_nc_u16 v1, v1, v3
	v_and_b32_e32 v1, 0xff, v1
	v_cmpx_gt_u32_e32 0x80, v2
	s_cbranch_execz .LBB5_2
; %bb.1:
	v_mad_u64_u32 v[3:4], null, v2, s1, v[1:2]
	v_lshlrev_b32_e32 v5, 2, v1
	v_ashrrev_i32_e32 v4, 31, v3
	v_lshlrev_b64 v[3:4], 2, v[3:4]
	v_add_co_u32 v3, vcc_lo, s0, v3
	v_add_co_ci_u32_e64 v4, null, s2, v4, vcc_lo
	global_load_dword v3, v[3:4], off
	v_mul_lo_u32 v4, 0x90, v2
	v_add3_u32 v4, 0, v4, v5
	s_waitcnt vmcnt(0)
	ds_write_b32 v4, v3
.LBB5_2:
	s_or_b32 exec_lo, exec_lo, s7
	v_or_b32_e32 v1, 0x80, v1
	s_mov_b32 s7, exec_lo
	v_mul_lo_u16 v3, v1, 57
	v_lshrrev_b16 v3, 11, v3
	v_mul_lo_u16 v4, v3, 36
	v_add_nc_u32_sdwa v2, v2, v3 dst_sel:DWORD dst_unused:UNUSED_PAD src0_sel:DWORD src1_sel:WORD_0
	v_sub_nc_u16 v1, v1, v4
	v_and_b32_e32 v1, 0xff, v1
	v_cmpx_gt_u32_e32 0x80, v2
	s_cbranch_execz .LBB5_4
; %bb.3:
	v_mad_u64_u32 v[3:4], null, v2, s1, v[1:2]
	v_lshlrev_b32_e32 v5, 2, v1
	v_ashrrev_i32_e32 v4, 31, v3
	v_lshlrev_b64 v[3:4], 2, v[3:4]
	v_add_co_u32 v3, vcc_lo, s0, v3
	v_add_co_ci_u32_e64 v4, null, s2, v4, vcc_lo
	global_load_dword v3, v[3:4], off
	v_mul_lo_u32 v4, 0x90, v2
	v_add3_u32 v4, 0, v4, v5
	s_waitcnt vmcnt(0)
	ds_write_b32 v4, v3
.LBB5_4:
	s_or_b32 exec_lo, exec_lo, s7
	v_or_b32_e32 v1, 0x80, v1
	s_mov_b32 s7, exec_lo
	v_mul_lo_u16 v3, v1, 57
	v_lshrrev_b16 v3, 11, v3
	v_mul_lo_u16 v4, v3, 36
	v_add_nc_u32_sdwa v2, v2, v3 dst_sel:DWORD dst_unused:UNUSED_PAD src0_sel:DWORD src1_sel:WORD_0
	;; [unrolled: 24-line block ×8, first 2 shown]
	v_sub_nc_u16 v1, v1, v4
	v_and_b32_e32 v1, 0xff, v1
	v_cmpx_gt_u32_e32 0x80, v2
	s_cbranch_execz .LBB5_18
; %bb.17:
	v_mad_u64_u32 v[3:4], null, v2, s1, v[1:2]
	v_lshlrev_b32_e32 v5, 2, v1
	v_ashrrev_i32_e32 v4, 31, v3
	v_lshlrev_b64 v[3:4], 2, v[3:4]
	v_add_co_u32 v3, vcc_lo, s0, v3
	v_add_co_ci_u32_e64 v4, null, s2, v4, vcc_lo
	global_load_dword v3, v[3:4], off
	v_mul_lo_u32 v4, 0x90, v2
	v_add3_u32 v4, 0, v4, v5
	s_waitcnt vmcnt(0)
	ds_write_b32 v4, v3
.LBB5_18:
	s_or_b32 exec_lo, exec_lo, s7
	s_clause 0x1
	s_load_dwordx4 s[8:11], s[4:5], 0x8
	s_load_dwordx2 s[16:17], s[4:5], 0x28
	s_mov_b32 s7, exec_lo
	v_cmpx_gt_u32_e32 0x380, v0
	s_cbranch_execz .LBB5_39
; %bb.19:
	v_or_b32_e32 v1, 0x80, v1
	s_mov_b32 s18, exec_lo
	v_mul_lo_u16 v3, v1, 57
	v_lshrrev_b16 v3, 11, v3
	v_mul_lo_u16 v4, v3, 36
	v_add_nc_u32_sdwa v2, v2, v3 dst_sel:DWORD dst_unused:UNUSED_PAD src0_sel:DWORD src1_sel:WORD_0
	v_sub_nc_u16 v1, v1, v4
	v_and_b32_e32 v1, 0xff, v1
	v_cmpx_gt_u32_e32 0x80, v2
	s_cbranch_execz .LBB5_21
; %bb.20:
	v_mad_u64_u32 v[3:4], null, v2, s1, v[1:2]
	v_lshlrev_b32_e32 v5, 2, v1
	v_ashrrev_i32_e32 v4, 31, v3
	v_lshlrev_b64 v[3:4], 2, v[3:4]
	v_add_co_u32 v3, vcc_lo, s0, v3
	v_add_co_ci_u32_e64 v4, null, s2, v4, vcc_lo
	global_load_dword v3, v[3:4], off
	v_mul_lo_u32 v4, 0x90, v2
	v_add3_u32 v4, 0, v4, v5
	s_waitcnt vmcnt(0)
	ds_write_b32 v4, v3
.LBB5_21:
	s_or_b32 exec_lo, exec_lo, s18
	v_cmp_gt_u32_e32 vcc_lo, 0x300, v0
	s_and_b32 exec_lo, exec_lo, vcc_lo
	s_cbranch_execz .LBB5_39
; %bb.22:
	v_or_b32_e32 v1, 0x80, v1
	s_mov_b32 s18, exec_lo
	v_mul_lo_u16 v3, v1, 57
	v_lshrrev_b16 v3, 11, v3
	v_mul_lo_u16 v4, v3, 36
	v_add_nc_u32_sdwa v2, v2, v3 dst_sel:DWORD dst_unused:UNUSED_PAD src0_sel:DWORD src1_sel:WORD_0
	v_sub_nc_u16 v1, v1, v4
	v_and_b32_e32 v1, 0xff, v1
	v_cmpx_gt_u32_e32 0x80, v2
	s_cbranch_execz .LBB5_24
; %bb.23:
	v_mad_u64_u32 v[3:4], null, v2, s1, v[1:2]
	v_lshlrev_b32_e32 v5, 2, v1
	v_ashrrev_i32_e32 v4, 31, v3
	v_lshlrev_b64 v[3:4], 2, v[3:4]
	v_add_co_u32 v3, vcc_lo, s0, v3
	v_add_co_ci_u32_e64 v4, null, s2, v4, vcc_lo
	global_load_dword v3, v[3:4], off
	v_mul_lo_u32 v4, 0x90, v2
	v_add3_u32 v4, 0, v4, v5
	s_waitcnt vmcnt(0)
	ds_write_b32 v4, v3
.LBB5_24:
	s_or_b32 exec_lo, exec_lo, s18
	v_cmp_gt_u32_e32 vcc_lo, 0x280, v0
	s_and_b32 exec_lo, exec_lo, vcc_lo
	;; [unrolled: 28-line block ×6, first 2 shown]
	s_cbranch_execz .LBB5_39
; %bb.37:
	v_or_b32_e32 v3, 0x80, v1
	v_mul_lo_u16 v1, v3, 57
	v_lshrrev_b16 v4, 11, v1
	v_add_nc_u32_sdwa v1, v2, v4 dst_sel:DWORD dst_unused:UNUSED_PAD src0_sel:DWORD src1_sel:WORD_0
	v_cmp_gt_u32_e32 vcc_lo, 0x80, v1
	s_and_b32 exec_lo, exec_lo, vcc_lo
	s_cbranch_execz .LBB5_39
; %bb.38:
	v_mul_lo_u16 v2, v4, 36
	v_sub_nc_u16 v2, v3, v2
	v_and_b32_e32 v2, 0xff, v2
	v_mad_u64_u32 v[3:4], null, v1, s1, v[2:3]
	v_mul_lo_u32 v1, 0x90, v1
	v_lshlrev_b32_e32 v2, 2, v2
	v_ashrrev_i32_e32 v4, 31, v3
	v_add3_u32 v1, 0, v1, v2
	v_lshlrev_b64 v[3:4], 2, v[3:4]
	v_add_co_u32 v3, vcc_lo, s0, v3
	v_add_co_ci_u32_e64 v4, null, s2, v4, vcc_lo
	global_load_dword v3, v[3:4], off
	s_waitcnt vmcnt(0)
	ds_write_b32 v1, v3
.LBB5_39:
	s_or_b32 exec_lo, exec_lo, s7
	s_ashr_i32 s0, s3, 31
	s_mul_hi_u32 s1, s12, s3
	s_mul_i32 s0, s12, s0
	s_mul_i32 s2, s13, s3
	s_add_i32 s0, s1, s0
	s_mul_i32 s1, s12, s3
	s_add_i32 s0, s0, s2
	s_waitcnt lgkmcnt(0)
	s_add_u32 s1, s8, s1
	s_addc_u32 s0, s9, s0
	s_ashr_i32 s2, s3, 2
	v_mul_lo_u32 v1, s2, v0
	s_barrier
	buffer_gl0_inv
	v_lshlrev_b32_e32 v6, 2, v0
	s_cmp_eq_u64 s[10:11], 0
	v_ashrrev_i32_e32 v2, 31, v1
	v_lshlrev_b64 v[1:2], 2, v[1:2]
	v_add_co_u32 v1, vcc_lo, s1, v1
	v_add_co_ci_u32_e64 v2, null, s0, v2, vcc_lo
	s_clause 0x1
	global_load_dword v9, v[1:2], off offset:16
	global_load_dwordx4 v[1:4], v[1:2], off
	s_cbranch_scc1 .LBB5_41
; %bb.40:
	s_lshl_b64 s[0:1], s[12:13], 2
	s_add_u32 s0, s10, s0
	s_addc_u32 s1, s11, s1
	global_load_dword v10, v6, s[0:1]
	s_branch .LBB5_42
.LBB5_41:
	v_mov_b32_e32 v10, 0
.LBB5_42:
	s_load_dwordx2 s[0:1], s[4:5], 0x40
	s_waitcnt lgkmcnt(0)
	s_sub_u32 s8, s0, s14
	s_subb_u32 s9, s1, s15
	v_cmp_lt_i64_e64 s0, s[8:9], 1
	s_and_b32 vcc_lo, exec_lo, s0
	s_cbranch_vccnz .LBB5_45
; %bb.43:
	s_load_dwordx4 s[0:3], s[4:5], 0x30
	v_mad_u32_u24 v0, 0x90, v0, 0
	ds_read_b32 v5, v0
	s_waitcnt lgkmcnt(0)
	s_mul_i32 s2, s2, s6
	s_mul_hi_u32 s5, s14, s1
	s_ashr_i32 s3, s2, 31
	s_add_u32 s2, s16, s2
	s_addc_u32 s3, s17, s3
	s_ashr_i32 s4, s1, 31
	s_mul_i32 s6, s15, s1
	s_mul_i32 s4, s14, s4
	s_add_i32 s4, s5, s4
	s_mul_i32 s5, s14, s1
	s_add_i32 s4, s4, s6
	s_add_u32 s2, s2, s5
	s_addc_u32 s3, s3, s4
	s_ashr_i32 s4, s0, 31
	s_mul_hi_u32 s5, s12, s0
	s_mul_i32 s4, s12, s4
	s_mul_i32 s6, s13, s0
	s_add_i32 s4, s5, s4
	s_mul_i32 s0, s12, s0
	s_add_i32 s4, s4, s6
	s_add_u32 s0, s2, s0
	s_addc_u32 s4, s3, s4
	s_ashr_i32 s2, s1, 2
	v_cmp_lt_u64_e64 s1, s[8:9], 32
	v_add_co_u32 v7, s0, s0, v6
	v_add_co_ci_u32_e64 v8, null, s4, 0, s0
	s_ashr_i32 s3, s2, 31
	s_and_b32 s0, s1, exec_lo
	s_cselect_b32 s1, s9, 0
	s_cselect_b32 s0, s8, 32
	s_lshl_b64 s[2:3], s[2:3], 2
.LBB5_44:                               ; =>This Inner Loop Header: Depth=1
	s_waitcnt vmcnt(0)
	v_fma_f32 v13, v1, v5, 0
	ds_read2_b32 v[5:6], v0 offset0:1 offset1:2
	ds_read2_b32 v[11:12], v0 offset0:3 offset1:4
	v_add_nc_u32_e32 v0, 4, v0
	s_add_u32 s0, s0, -1
	s_addc_u32 s1, s1, -1
	s_cmp_lg_u64 s[0:1], 0
	s_waitcnt lgkmcnt(1)
	v_fmac_f32_e32 v13, v2, v5
	v_fmac_f32_e32 v13, v3, v6
	s_waitcnt lgkmcnt(0)
	v_fmac_f32_e32 v13, v4, v11
	v_fmac_f32_e32 v13, v9, v12
	v_add_f32_e32 v6, v10, v13
	v_mul_f32_e32 v11, 0xbfb8aa3b, v6
	v_cmp_nlt_f32_e32 vcc_lo, 0x42ce8ed0, v6
	v_fma_f32 v12, 0xbfb8aa3b, v6, -v11
	v_rndne_f32_e32 v13, v11
	v_fmac_f32_e32 v12, 0xb2a5705f, v6
	v_sub_f32_e32 v11, v11, v13
	v_add_f32_e32 v11, v11, v12
	v_cvt_i32_f32_e32 v12, v13
	v_exp_f32_e32 v11, v11
	v_ldexp_f32 v11, v11, v12
	v_cndmask_b32_e32 v11, 0, v11, vcc_lo
	v_cmp_ngt_f32_e32 vcc_lo, 0xc2b17218, v6
	v_cndmask_b32_e32 v11, 0x7f800000, v11, vcc_lo
	v_add_f32_e32 v11, 1.0, v11
	v_div_scale_f32 v12, null, v11, v11, v6
	v_div_scale_f32 v14, vcc_lo, v6, v11, v6
	v_rcp_f32_e32 v13, v12
	v_fma_f32 v15, -v12, v13, 1.0
	v_fmac_f32_e32 v13, v15, v13
	v_mul_f32_e32 v15, v14, v13
	v_fma_f32 v16, -v12, v15, v14
	v_fmac_f32_e32 v15, v16, v13
	v_fma_f32 v12, -v12, v15, v14
	v_div_fmas_f32 v12, v12, v13, v15
	v_div_fixup_f32 v6, v12, v11, v6
	global_store_dword v[7:8], v6, off
	v_add_co_u32 v7, vcc_lo, v7, s2
	v_add_co_ci_u32_e64 v8, null, s3, v8, vcc_lo
	s_cbranch_scc1 .LBB5_44
.LBB5_45:
	s_endpgm
	.section	.rodata,"a",@progbits
	.p2align	6, 0x0
	.amdhsa_kernel _ZL23ssm_conv_long_token_f32ILb1ELm128ELm5ELl32EEvPKfS1_S1_iiiiPfiiil
		.amdhsa_group_segment_fixed_size 0
		.amdhsa_private_segment_fixed_size 0
		.amdhsa_kernarg_size 72
		.amdhsa_user_sgpr_count 6
		.amdhsa_user_sgpr_private_segment_buffer 1
		.amdhsa_user_sgpr_dispatch_ptr 0
		.amdhsa_user_sgpr_queue_ptr 0
		.amdhsa_user_sgpr_kernarg_segment_ptr 1
		.amdhsa_user_sgpr_dispatch_id 0
		.amdhsa_user_sgpr_flat_scratch_init 0
		.amdhsa_user_sgpr_private_segment_size 0
		.amdhsa_wavefront_size32 1
		.amdhsa_uses_dynamic_stack 0
		.amdhsa_system_sgpr_private_segment_wavefront_offset 0
		.amdhsa_system_sgpr_workgroup_id_x 1
		.amdhsa_system_sgpr_workgroup_id_y 1
		.amdhsa_system_sgpr_workgroup_id_z 1
		.amdhsa_system_sgpr_workgroup_info 0
		.amdhsa_system_vgpr_workitem_id 0
		.amdhsa_next_free_vgpr 17
		.amdhsa_next_free_sgpr 19
		.amdhsa_reserve_vcc 1
		.amdhsa_reserve_flat_scratch 0
		.amdhsa_float_round_mode_32 0
		.amdhsa_float_round_mode_16_64 0
		.amdhsa_float_denorm_mode_32 3
		.amdhsa_float_denorm_mode_16_64 3
		.amdhsa_dx10_clamp 1
		.amdhsa_ieee_mode 1
		.amdhsa_fp16_overflow 0
		.amdhsa_workgroup_processor_mode 1
		.amdhsa_memory_ordered 1
		.amdhsa_forward_progress 1
		.amdhsa_shared_vgpr_count 0
		.amdhsa_exception_fp_ieee_invalid_op 0
		.amdhsa_exception_fp_denorm_src 0
		.amdhsa_exception_fp_ieee_div_zero 0
		.amdhsa_exception_fp_ieee_overflow 0
		.amdhsa_exception_fp_ieee_underflow 0
		.amdhsa_exception_fp_ieee_inexact 0
		.amdhsa_exception_int_div_zero 0
	.end_amdhsa_kernel
	.section	.text._ZL23ssm_conv_long_token_f32ILb1ELm128ELm5ELl32EEvPKfS1_S1_iiiiPfiiil,"axG",@progbits,_ZL23ssm_conv_long_token_f32ILb1ELm128ELm5ELl32EEvPKfS1_S1_iiiiPfiiil,comdat
.Lfunc_end5:
	.size	_ZL23ssm_conv_long_token_f32ILb1ELm128ELm5ELl32EEvPKfS1_S1_iiiiPfiiil, .Lfunc_end5-_ZL23ssm_conv_long_token_f32ILb1ELm128ELm5ELl32EEvPKfS1_S1_iiiiPfiiil
                                        ; -- End function
	.set _ZL23ssm_conv_long_token_f32ILb1ELm128ELm5ELl32EEvPKfS1_S1_iiiiPfiiil.num_vgpr, 17
	.set _ZL23ssm_conv_long_token_f32ILb1ELm128ELm5ELl32EEvPKfS1_S1_iiiiPfiiil.num_agpr, 0
	.set _ZL23ssm_conv_long_token_f32ILb1ELm128ELm5ELl32EEvPKfS1_S1_iiiiPfiiil.numbered_sgpr, 19
	.set _ZL23ssm_conv_long_token_f32ILb1ELm128ELm5ELl32EEvPKfS1_S1_iiiiPfiiil.num_named_barrier, 0
	.set _ZL23ssm_conv_long_token_f32ILb1ELm128ELm5ELl32EEvPKfS1_S1_iiiiPfiiil.private_seg_size, 0
	.set _ZL23ssm_conv_long_token_f32ILb1ELm128ELm5ELl32EEvPKfS1_S1_iiiiPfiiil.uses_vcc, 1
	.set _ZL23ssm_conv_long_token_f32ILb1ELm128ELm5ELl32EEvPKfS1_S1_iiiiPfiiil.uses_flat_scratch, 0
	.set _ZL23ssm_conv_long_token_f32ILb1ELm128ELm5ELl32EEvPKfS1_S1_iiiiPfiiil.has_dyn_sized_stack, 0
	.set _ZL23ssm_conv_long_token_f32ILb1ELm128ELm5ELl32EEvPKfS1_S1_iiiiPfiiil.has_recursion, 0
	.set _ZL23ssm_conv_long_token_f32ILb1ELm128ELm5ELl32EEvPKfS1_S1_iiiiPfiiil.has_indirect_call, 0
	.section	.AMDGPU.csdata,"",@progbits
; Kernel info:
; codeLenInByte = 6068
; TotalNumSgprs: 21
; NumVgprs: 17
; ScratchSize: 0
; MemoryBound: 0
; FloatMode: 240
; IeeeMode: 1
; LDSByteSize: 0 bytes/workgroup (compile time only)
; SGPRBlocks: 0
; VGPRBlocks: 2
; NumSGPRsForWavesPerEU: 21
; NumVGPRsForWavesPerEU: 17
; Occupancy: 16
; WaveLimiterHint : 0
; COMPUTE_PGM_RSRC2:SCRATCH_EN: 0
; COMPUTE_PGM_RSRC2:USER_SGPR: 6
; COMPUTE_PGM_RSRC2:TRAP_HANDLER: 0
; COMPUTE_PGM_RSRC2:TGID_X_EN: 1
; COMPUTE_PGM_RSRC2:TGID_Y_EN: 1
; COMPUTE_PGM_RSRC2:TGID_Z_EN: 1
; COMPUTE_PGM_RSRC2:TIDIG_COMP_CNT: 0
	.section	.text._ZL12ssm_conv_f32ILb1ELm128ELm9EEvPKfS1_S1_iiiiPfiiil,"axG",@progbits,_ZL12ssm_conv_f32ILb1ELm128ELm9EEvPKfS1_S1_iiiiPfiiil,comdat
	.globl	_ZL12ssm_conv_f32ILb1ELm128ELm9EEvPKfS1_S1_iiiiPfiiil ; -- Begin function _ZL12ssm_conv_f32ILb1ELm128ELm9EEvPKfS1_S1_iiiiPfiiil
	.p2align	8
	.type	_ZL12ssm_conv_f32ILb1ELm128ELm9EEvPKfS1_S1_iiiiPfiiil,@function
_ZL12ssm_conv_f32ILb1ELm128ELm9EEvPKfS1_S1_iiiiPfiiil: ; @_ZL12ssm_conv_f32ILb1ELm128ELm9EEvPKfS1_S1_iiiiPfiiil
; %bb.0:
	s_clause 0x2
	s_load_dwordx4 s[12:15], s[4:5], 0x1c
	s_load_dwordx4 s[0:3], s[4:5], 0x0
	s_load_dwordx2 s[8:9], s[4:5], 0x10
	s_mov_b32 s10, s7
	s_ashr_i32 s11, s7, 31
	v_lshlrev_b32_e32 v19, 2, v0
	s_lshl_b64 s[16:17], s[10:11], 7
	s_lshr_b64 s[10:11], s[10:11], 25
	s_waitcnt lgkmcnt(0)
	s_ashr_i32 s7, s14, 31
	s_mul_hi_u32 s11, s16, s14
	s_mul_i32 s7, s16, s7
	s_mul_i32 s10, s10, s14
	s_add_i32 s7, s11, s7
	s_mul_i32 s11, s16, s14
	s_add_i32 s7, s7, s10
	s_add_u32 s18, s2, s11
	s_addc_u32 s19, s3, s7
	s_cmp_eq_u64 s[8:9], 0
	s_cbranch_scc1 .LBB6_2
; %bb.1:
	s_lshl_b64 s[2:3], s[16:17], 2
	s_add_u32 s2, s8, s2
	s_addc_u32 s3, s9, s3
	global_load_dword v21, v19, s[2:3]
	s_load_dwordx2 s[2:3], s[4:5], 0x40
	s_waitcnt lgkmcnt(0)
	v_cmp_lt_i64_e64 s7, s[2:3], 1
	s_and_b32 vcc_lo, exec_lo, s7
	s_cbranch_vccz .LBB6_3
	s_branch .LBB6_6
.LBB6_2:
	v_mov_b32_e32 v21, 0
	s_load_dwordx2 s[2:3], s[4:5], 0x40
	s_waitcnt lgkmcnt(0)
	v_cmp_lt_i64_e64 s7, s[2:3], 1
	s_and_b32 vcc_lo, exec_lo, s7
	s_cbranch_vccnz .LBB6_6
.LBB6_3:
	s_clause 0x1
	s_load_dwordx4 s[8:11], s[4:5], 0x30
	s_load_dwordx2 s[4:5], s[4:5], 0x28
	s_mul_i32 s7, s13, s6
	s_ashr_i32 s13, s12, 31
	s_ashr_i32 s20, s14, 2
	s_mul_hi_u32 s14, s16, s12
	s_mul_i32 s21, s16, s13
	s_mul_i32 s15, s17, s12
	s_add_i32 s14, s14, s21
	s_ashr_i32 s13, s7, 31
	s_add_i32 s14, s14, s15
	s_waitcnt lgkmcnt(0)
	s_mul_i32 s11, s16, s12
	v_mul_lo_u32 v3, s20, v0
	v_ashrrev_i32_e32 v4, 31, v3
	s_mul_i32 s6, s10, s6
	s_mul_hi_u32 s23, s16, s8
	s_ashr_i32 s10, s6, 31
	s_add_u32 s21, s4, s6
	s_addc_u32 s22, s5, s10
	s_ashr_i32 s15, s8, 31
	s_mul_i32 s17, s17, s8
	s_mul_i32 s15, s16, s15
	;; [unrolled: 1-line block ×3, first 2 shown]
	s_add_i32 s15, s23, s15
	s_add_i32 s15, s15, s17
	s_add_u32 s16, s21, s8
	s_addc_u32 s17, s22, s15
	s_add_u32 s21, s0, s7
	s_addc_u32 s22, s1, s13
	;; [unrolled: 2-line block ×3, first 2 shown]
	s_ashr_i32 s12, s12, 2
	s_cmp_eq_u64 s[2:3], 1
	v_mul_lo_u32 v1, s12, v0
	v_ashrrev_i32_e32 v2, 31, v1
	v_lshlrev_b64 v[17:18], 2, v[1:2]
	v_lshlrev_b64 v[0:1], 2, v[3:4]
	v_add_co_u32 v23, vcc_lo, s21, v17
	v_add_co_ci_u32_e64 v24, null, s22, v18, vcc_lo
	v_add_co_u32 v25, vcc_lo, s18, v0
	v_add_co_ci_u32_e64 v26, null, s19, v1, vcc_lo
	global_load_dwordx4 v[0:3], v[23:24], off
	s_clause 0x1
	global_load_dwordx4 v[9:12], v[25:26], off
	global_load_dwordx4 v[13:16], v[25:26], off offset:16
	global_load_dwordx4 v[4:7], v[23:24], off offset:16
	global_load_dword v22, v[25:26], off offset:32
	global_load_dword v8, v[23:24], off offset:32
	s_waitcnt vmcnt(4)
	v_fma_f32 v20, v9, v0, 0
	v_fmac_f32_e32 v20, v10, v1
	v_fmac_f32_e32 v20, v11, v2
	;; [unrolled: 1-line block ×3, first 2 shown]
	s_waitcnt vmcnt(2)
	v_fmac_f32_e32 v20, v13, v4
	v_fmac_f32_e32 v20, v14, v5
	;; [unrolled: 1-line block ×4, first 2 shown]
	s_waitcnt vmcnt(0)
	v_fmac_f32_e32 v20, v22, v8
	v_add_f32_e32 v20, v21, v20
	v_mul_f32_e32 v23, 0xbfb8aa3b, v20
	v_cmp_nlt_f32_e32 vcc_lo, 0x42ce8ed0, v20
	v_fma_f32 v24, 0xbfb8aa3b, v20, -v23
	v_rndne_f32_e32 v25, v23
	v_fmac_f32_e32 v24, 0xb2a5705f, v20
	v_sub_f32_e32 v23, v23, v25
	v_add_f32_e32 v23, v23, v24
	v_cvt_i32_f32_e32 v24, v25
	v_exp_f32_e32 v23, v23
	v_ldexp_f32 v23, v23, v24
	v_cndmask_b32_e32 v23, 0, v23, vcc_lo
	v_cmp_ngt_f32_e32 vcc_lo, 0xc2b17218, v20
	v_cndmask_b32_e32 v23, 0x7f800000, v23, vcc_lo
	v_add_f32_e32 v23, 1.0, v23
	v_div_scale_f32 v24, null, v23, v23, v20
	v_rcp_f32_e32 v25, v24
	v_fma_f32 v26, -v24, v25, 1.0
	v_fmac_f32_e32 v25, v26, v25
	v_div_scale_f32 v26, vcc_lo, v20, v23, v20
	v_mul_f32_e32 v27, v26, v25
	v_fma_f32 v28, -v24, v27, v26
	v_fmac_f32_e32 v27, v28, v25
	v_fma_f32 v24, -v24, v27, v26
	v_div_fmas_f32 v24, v24, v25, v27
	v_div_fixup_f32 v20, v24, v23, v20
	global_store_dword v19, v20, s[16:17]
	s_cbranch_scc1 .LBB6_6
; %bb.4:
	s_ashr_i32 s16, s9, 2
	s_mov_b64 s[18:19], 4
	s_ashr_i32 s17, s16, 31
	s_add_u32 s2, s2, -1
	s_addc_u32 s3, s3, -1
	s_add_u32 s0, s0, s7
	s_addc_u32 s1, s1, s13
	s_add_u32 s0, s0, s11
	s_addc_u32 s1, s1, s14
	v_add_co_u32 v17, vcc_lo, s0, v17
	v_add_co_ci_u32_e64 v18, null, s1, v18, vcc_lo
	s_lshl_b64 s[0:1], s[16:17], 2
	v_add_co_u32 v17, vcc_lo, v17, 36
	s_add_u32 s7, s8, s0
	s_addc_u32 s8, s15, s1
	s_add_u32 s4, s4, s6
	s_addc_u32 s5, s5, s10
	;; [unrolled: 2-line block ×3, first 2 shown]
	v_add_co_u32 v19, s4, s4, v19
	v_add_co_ci_u32_e64 v18, null, 0, v18, vcc_lo
	v_add_co_ci_u32_e64 v20, null, s5, 0, s4
	s_mov_b64 s[4:5], 1
	s_mov_b64 s[6:7], 0
	;; [unrolled: 1-line block ×9, first 2 shown]
.LBB6_5:                                ; =>This Inner Loop Header: Depth=1
	global_load_dword v23, v[17:18], off
	s_mul_i32 s93, s5, 0x8e38e38f
	s_mul_hi_u32 s94, s4, 0x8e38e38f
	s_mul_hi_u32 s90, s5, 0x8e38e38f
	s_mul_i32 s87, s4, 0xe38e38e3
	s_add_u32 s93, s93, s94
	s_mul_hi_u32 s82, s4, 0xe38e38e3
	s_addc_u32 s90, s90, 0
	s_add_u32 s87, s87, s93
	s_addc_u32 s82, s82, 0
	s_mul_i32 s89, s5, 0xe38e38e3
	s_add_u32 s82, s90, s82
	s_mul_hi_u32 s84, s5, 0xe38e38e3
	s_addc_u32 s87, 0, 0
	s_add_u32 s94, s89, s82
	s_addc_u32 s95, s84, s87
	s_mul_i32 s91, s9, 0x8e38e38f
	s_mul_hi_u32 s92, s8, 0x8e38e38f
	s_mul_hi_u32 s85, s9, 0x8e38e38f
	s_lshr_b64 s[94:95], s[94:95], 3
	s_mul_i32 s80, s8, 0xe38e38e3
	s_add_u32 s82, s91, s92
	s_mul_hi_u32 s75, s8, 0xe38e38e3
	s_addc_u32 s85, s85, 0
	s_add_u32 s80, s80, s82
	s_addc_u32 s75, s75, 0
	s_mul_i32 s83, s9, 0xe38e38e3
	s_add_u32 s75, s85, s75
	s_mul_hi_u32 s77, s9, 0xe38e38e3
	s_addc_u32 s80, 0, 0
	s_add_u32 s82, s83, s75
	s_addc_u32 s83, s77, s80
	s_mul_i32 s86, s11, 0x8e38e38f
	s_mul_hi_u32 s88, s10, 0x8e38e38f
	s_mul_hi_u32 s78, s11, 0x8e38e38f
	s_lshr_b64 s[82:83], s[82:83], 3
	;; [unrolled: 16-line block ×9, first 2 shown]
	s_mul_i32 s26, s6, 0xe38e38e3
	s_add_u32 s27, s37, s39
	s_mul_hi_u32 s24, s6, 0xe38e38e3
	s_addc_u32 s30, s30, 0
	s_add_u32 s26, s26, s27
	s_addc_u32 s24, s24, 0
	s_mul_i32 s28, s7, 0xe38e38e3
	s_add_u32 s24, s30, s24
	s_mul_hi_u32 s25, s7, 0xe38e38e3
	s_addc_u32 s26, 0, 0
	s_add_u32 s24, s28, s24
	s_addc_u32 s25, s25, s26
	s_mul_i32 s84, s94, 9
	s_lshr_b64 s[24:25], s[24:25], 3
	s_sub_i32 s26, s6, s84
	s_mul_i32 s24, s24, -9
	s_mul_i32 s29, s34, 9
	s_add_i32 m0, s6, s24
	s_mul_i32 s38, s40, 9
	s_mul_i32 s42, s48, 9
	;; [unrolled: 1-line block ×7, first 2 shown]
	v_add_co_u32 v17, vcc_lo, v17, 4
	v_add_co_ci_u32_e64 v18, null, 0, v18, vcc_lo
	s_waitcnt vmcnt(0)
	v_movreld_b32_e32 v0, v23
	s_add_i32 m0, s26, 1
	s_add_u32 s4, s4, 1
	v_movrels_b32_e32 v23, v0
	s_addc_u32 s5, s5, 0
	s_sub_i32 s24, s6, s29
	s_sub_i32 s25, s6, s38
	s_add_i32 m0, s24, 2
	v_fma_f32 v23, v9, v23, 0
	v_movrels_b32_e32 v24, v0
	s_add_i32 m0, s25, 3
	s_sub_i32 s26, s6, s42
	v_movrels_b32_e32 v25, v0
	s_add_i32 m0, s26, 4
	v_fmac_f32_e32 v23, v10, v24
	v_movrels_b32_e32 v26, v0
	s_sub_i32 s27, s6, s52
	s_sub_i32 s28, s6, s56
	s_add_i32 m0, s27, 5
	v_fmac_f32_e32 v23, v11, v25
	v_movrels_b32_e32 v27, v0
	s_add_i32 m0, s28, 6
	s_sub_i32 s29, s6, s66
	v_movrels_b32_e32 v28, v0
	v_fmac_f32_e32 v23, v12, v26
	s_add_i32 m0, s29, 7
	s_sub_i32 s30, s6, s70
	v_movrels_b32_e32 v24, v0
	s_add_i32 m0, s30, 8
	v_fmac_f32_e32 v23, v13, v27
	v_movrels_b32_e32 v29, v0
	s_sub_i32 s31, s6, s80
	s_add_i32 m0, s31, 9
	v_fmac_f32_e32 v23, v14, v28
	v_movrels_b32_e32 v25, v0
	s_add_u32 s6, s6, 1
	s_addc_u32 s7, s7, 0
	s_add_u32 s8, s8, 1
	v_fmac_f32_e32 v23, v15, v24
	s_addc_u32 s9, s9, 0
	s_add_u32 s10, s10, 1
	s_addc_u32 s11, s11, 0
	s_add_u32 s12, s12, 1
	v_fmac_f32_e32 v23, v16, v29
	s_addc_u32 s13, s13, 0
	;; [unrolled: 5-line block ×3, first 2 shown]
	s_add_u32 s18, s18, 1
	s_addc_u32 s19, s19, 0
	s_add_u32 s20, s20, 1
	v_add_f32_e32 v23, v21, v23
	s_addc_u32 s21, s21, 0
	s_add_u32 s22, s22, 1
	s_addc_u32 s23, s23, 0
	s_cmp_eq_u64 s[2:3], s[6:7]
	v_mul_f32_e32 v24, 0xbfb8aa3b, v23
	v_cmp_nlt_f32_e32 vcc_lo, 0x42ce8ed0, v23
	v_fma_f32 v25, 0xbfb8aa3b, v23, -v24
	v_rndne_f32_e32 v26, v24
	v_fmac_f32_e32 v25, 0xb2a5705f, v23
	v_sub_f32_e32 v24, v24, v26
	v_add_f32_e32 v24, v24, v25
	v_cvt_i32_f32_e32 v25, v26
	v_exp_f32_e32 v24, v24
	v_ldexp_f32 v24, v24, v25
	v_cndmask_b32_e32 v24, 0, v24, vcc_lo
	v_cmp_ngt_f32_e32 vcc_lo, 0xc2b17218, v23
	v_cndmask_b32_e32 v24, 0x7f800000, v24, vcc_lo
	v_add_f32_e32 v24, 1.0, v24
	v_div_scale_f32 v25, null, v24, v24, v23
	v_div_scale_f32 v27, vcc_lo, v23, v24, v23
	v_rcp_f32_e32 v26, v25
	v_fma_f32 v28, -v25, v26, 1.0
	v_fmac_f32_e32 v26, v28, v26
	v_mul_f32_e32 v28, v27, v26
	v_fma_f32 v29, -v25, v28, v27
	v_fmac_f32_e32 v28, v29, v26
	v_fma_f32 v25, -v25, v28, v27
	v_div_fmas_f32 v25, v25, v26, v28
	v_div_fixup_f32 v23, v25, v24, v23
	global_store_dword v[19:20], v23, off
	v_add_co_u32 v19, vcc_lo, v19, s0
	v_add_co_ci_u32_e64 v20, null, s1, v20, vcc_lo
	s_cbranch_scc0 .LBB6_5
.LBB6_6:
	s_endpgm
	.section	.rodata,"a",@progbits
	.p2align	6, 0x0
	.amdhsa_kernel _ZL12ssm_conv_f32ILb1ELm128ELm9EEvPKfS1_S1_iiiiPfiiil
		.amdhsa_group_segment_fixed_size 0
		.amdhsa_private_segment_fixed_size 0
		.amdhsa_kernarg_size 72
		.amdhsa_user_sgpr_count 6
		.amdhsa_user_sgpr_private_segment_buffer 1
		.amdhsa_user_sgpr_dispatch_ptr 0
		.amdhsa_user_sgpr_queue_ptr 0
		.amdhsa_user_sgpr_kernarg_segment_ptr 1
		.amdhsa_user_sgpr_dispatch_id 0
		.amdhsa_user_sgpr_flat_scratch_init 0
		.amdhsa_user_sgpr_private_segment_size 0
		.amdhsa_wavefront_size32 1
		.amdhsa_uses_dynamic_stack 0
		.amdhsa_system_sgpr_private_segment_wavefront_offset 0
		.amdhsa_system_sgpr_workgroup_id_x 1
		.amdhsa_system_sgpr_workgroup_id_y 1
		.amdhsa_system_sgpr_workgroup_id_z 0
		.amdhsa_system_sgpr_workgroup_info 0
		.amdhsa_system_vgpr_workitem_id 0
		.amdhsa_next_free_vgpr 30
		.amdhsa_next_free_sgpr 96
		.amdhsa_reserve_vcc 1
		.amdhsa_reserve_flat_scratch 0
		.amdhsa_float_round_mode_32 0
		.amdhsa_float_round_mode_16_64 0
		.amdhsa_float_denorm_mode_32 3
		.amdhsa_float_denorm_mode_16_64 3
		.amdhsa_dx10_clamp 1
		.amdhsa_ieee_mode 1
		.amdhsa_fp16_overflow 0
		.amdhsa_workgroup_processor_mode 1
		.amdhsa_memory_ordered 1
		.amdhsa_forward_progress 1
		.amdhsa_shared_vgpr_count 0
		.amdhsa_exception_fp_ieee_invalid_op 0
		.amdhsa_exception_fp_denorm_src 0
		.amdhsa_exception_fp_ieee_div_zero 0
		.amdhsa_exception_fp_ieee_overflow 0
		.amdhsa_exception_fp_ieee_underflow 0
		.amdhsa_exception_fp_ieee_inexact 0
		.amdhsa_exception_int_div_zero 0
	.end_amdhsa_kernel
	.section	.text._ZL12ssm_conv_f32ILb1ELm128ELm9EEvPKfS1_S1_iiiiPfiiil,"axG",@progbits,_ZL12ssm_conv_f32ILb1ELm128ELm9EEvPKfS1_S1_iiiiPfiiil,comdat
.Lfunc_end6:
	.size	_ZL12ssm_conv_f32ILb1ELm128ELm9EEvPKfS1_S1_iiiiPfiiil, .Lfunc_end6-_ZL12ssm_conv_f32ILb1ELm128ELm9EEvPKfS1_S1_iiiiPfiiil
                                        ; -- End function
	.set _ZL12ssm_conv_f32ILb1ELm128ELm9EEvPKfS1_S1_iiiiPfiiil.num_vgpr, 30
	.set _ZL12ssm_conv_f32ILb1ELm128ELm9EEvPKfS1_S1_iiiiPfiiil.num_agpr, 0
	.set _ZL12ssm_conv_f32ILb1ELm128ELm9EEvPKfS1_S1_iiiiPfiiil.numbered_sgpr, 96
	.set _ZL12ssm_conv_f32ILb1ELm128ELm9EEvPKfS1_S1_iiiiPfiiil.num_named_barrier, 0
	.set _ZL12ssm_conv_f32ILb1ELm128ELm9EEvPKfS1_S1_iiiiPfiiil.private_seg_size, 0
	.set _ZL12ssm_conv_f32ILb1ELm128ELm9EEvPKfS1_S1_iiiiPfiiil.uses_vcc, 1
	.set _ZL12ssm_conv_f32ILb1ELm128ELm9EEvPKfS1_S1_iiiiPfiiil.uses_flat_scratch, 0
	.set _ZL12ssm_conv_f32ILb1ELm128ELm9EEvPKfS1_S1_iiiiPfiiil.has_dyn_sized_stack, 0
	.set _ZL12ssm_conv_f32ILb1ELm128ELm9EEvPKfS1_S1_iiiiPfiiil.has_recursion, 0
	.set _ZL12ssm_conv_f32ILb1ELm128ELm9EEvPKfS1_S1_iiiiPfiiil.has_indirect_call, 0
	.section	.AMDGPU.csdata,"",@progbits
; Kernel info:
; codeLenInByte = 2244
; TotalNumSgprs: 98
; NumVgprs: 30
; ScratchSize: 0
; MemoryBound: 0
; FloatMode: 240
; IeeeMode: 1
; LDSByteSize: 0 bytes/workgroup (compile time only)
; SGPRBlocks: 0
; VGPRBlocks: 3
; NumSGPRsForWavesPerEU: 98
; NumVGPRsForWavesPerEU: 30
; Occupancy: 16
; WaveLimiterHint : 0
; COMPUTE_PGM_RSRC2:SCRATCH_EN: 0
; COMPUTE_PGM_RSRC2:USER_SGPR: 6
; COMPUTE_PGM_RSRC2:TRAP_HANDLER: 0
; COMPUTE_PGM_RSRC2:TGID_X_EN: 1
; COMPUTE_PGM_RSRC2:TGID_Y_EN: 1
; COMPUTE_PGM_RSRC2:TGID_Z_EN: 0
; COMPUTE_PGM_RSRC2:TIDIG_COMP_CNT: 0
	.section	.text._ZL23ssm_conv_long_token_f32ILb1ELm128ELm9ELl32EEvPKfS1_S1_iiiiPfiiil,"axG",@progbits,_ZL23ssm_conv_long_token_f32ILb1ELm128ELm9ELl32EEvPKfS1_S1_iiiiPfiiil,comdat
	.globl	_ZL23ssm_conv_long_token_f32ILb1ELm128ELm9ELl32EEvPKfS1_S1_iiiiPfiiil ; -- Begin function _ZL23ssm_conv_long_token_f32ILb1ELm128ELm9ELl32EEvPKfS1_S1_iiiiPfiiil
	.p2align	8
	.type	_ZL23ssm_conv_long_token_f32ILb1ELm128ELm9ELl32EEvPKfS1_S1_iiiiPfiiil,@function
_ZL23ssm_conv_long_token_f32ILb1ELm128ELm9ELl32EEvPKfS1_S1_iiiiPfiiil: ; @_ZL23ssm_conv_long_token_f32ILb1ELm128ELm9ELl32EEvPKfS1_S1_iiiiPfiiil
; %bb.0:
	v_mul_u32_u24_e32 v1, 0x667, v0
	s_clause 0x1
	s_load_dwordx4 s[0:3], s[4:5], 0x18
	s_load_dwordx2 s[12:13], s[4:5], 0x0
	s_mov_b32 s10, s7
	v_lshrrev_b32_e32 v17, 16, v1
	v_mul_lo_u16 v1, v17, 40
	v_sub_nc_u16 v1, v0, v1
	v_or_b32_e32 v2, 0x80, v1
	v_and_b32_e32 v14, 0xffff, v1
	s_waitcnt lgkmcnt(0)
	s_mul_i32 s2, s2, s6
	s_ashr_i32 s7, s2, 31
	v_mul_lo_u16 v3, 0xcd, v2
	s_add_u32 s2, s12, s2
	s_addc_u32 s7, s13, s7
	s_ashr_i32 s11, s10, 31
	s_ashr_i32 s9, s1, 31
	v_lshrrev_b16 v3, 13, v3
	s_lshl_b64 s[12:13], s[10:11], 7
	s_lshr_b64 s[10:11], s[10:11], 25
	s_mul_i32 s9, s12, s9
	s_mul_hi_u32 s11, s12, s1
	v_mul_lo_u16 v4, v3, 40
	s_mul_i32 s10, s10, s1
	s_add_i32 s9, s11, s9
	s_mul_i32 s11, s12, s1
	s_add_i32 s9, s9, s10
	v_sub_nc_u16 v2, v2, v4
	s_add_u32 s2, s2, s11
	s_addc_u32 s7, s7, s9
	s_ashr_i32 s9, s8, 31
	s_ashr_i32 s10, s0, 31
	v_and_b32_e32 v5, 0xff, v2
	s_lshl_b64 s[14:15], s[8:9], 5
	s_lshr_b64 s[8:9], s[8:9], 27
	s_mul_i32 s9, s14, s10
	s_mul_hi_u32 s10, s14, s0
	v_or_b32_e32 v2, 0x80, v5
	s_mul_i32 s8, s8, s0
	s_add_i32 s9, s10, s9
	s_mul_i32 s0, s14, s0
	s_add_i32 s9, s9, s8
	v_mul_lo_u16 v4, 0xcd, v2
	s_add_u32 s0, s2, s0
	s_addc_u32 s2, s7, s9
	s_ashr_i32 s1, s1, 2
	v_add_nc_u32_sdwa v27, v17, v3 dst_sel:DWORD dst_unused:UNUSED_PAD src0_sel:DWORD src1_sel:WORD_0
	v_lshrrev_b16 v6, 13, v4
	s_mov_b32 s7, exec_lo
	v_mul_lo_u16 v4, v6, 40
	v_add_nc_u32_sdwa v28, v27, v6 dst_sel:DWORD dst_unused:UNUSED_PAD src0_sel:DWORD src1_sel:WORD_0
	v_sub_nc_u16 v2, v2, v4
	v_and_b32_e32 v7, 0xff, v2
	v_or_b32_e32 v2, 0x80, v7
	v_mul_lo_u16 v4, 0xcd, v2
	v_lshrrev_b16 v8, 13, v4
	v_mul_lo_u16 v4, v8, 40
	v_mad_u64_u32 v[18:19], null, v28, s1, v[7:8]
	v_add_nc_u32_sdwa v33, v28, v8 dst_sel:DWORD dst_unused:UNUSED_PAD src0_sel:DWORD src1_sel:WORD_0
	v_mul_u32_u24_e32 v28, 0xa0, v28
	v_sub_nc_u16 v2, v2, v4
	v_lshlrev_b32_e32 v7, 2, v7
	v_ashrrev_i32_e32 v19, 31, v18
	v_and_b32_e32 v9, 0xff, v2
	v_add3_u32 v46, 0, v28, v7
	v_or_b32_e32 v2, 0x80, v9
	v_mul_lo_u16 v4, 0xcd, v2
	v_lshrrev_b16 v10, 13, v4
	v_mul_lo_u16 v4, v10, 40
	v_mad_u64_u32 v[20:21], null, v33, s1, v[9:10]
	v_add_nc_u32_sdwa v34, v33, v10 dst_sel:DWORD dst_unused:UNUSED_PAD src0_sel:DWORD src1_sel:WORD_0
	v_lshlrev_b32_e32 v9, 2, v9
	v_sub_nc_u16 v2, v2, v4
	v_ashrrev_i32_e32 v21, 31, v20
	v_and_b32_e32 v12, 0xff, v2
	v_or_b32_e32 v2, 0x80, v12
	v_mul_lo_u16 v4, 0xcd, v2
	v_lshrrev_b16 v23, 13, v4
	v_mul_lo_u16 v4, v23, 40
	v_add_nc_u32_sdwa v35, v34, v23 dst_sel:DWORD dst_unused:UNUSED_PAD src0_sel:DWORD src1_sel:WORD_0
	v_sub_nc_u16 v2, v2, v4
	v_mul_u32_u24_e32 v7, 0xa0, v35
	v_and_b32_e32 v11, 0xff, v2
	v_or_b32_e32 v2, 0x80, v11
	v_mul_lo_u16 v4, 0xcd, v2
	v_lshrrev_b16 v24, 13, v4
	v_mad_u64_u32 v[3:4], null, v27, s1, v[5:6]
	v_mul_lo_u16 v1, v24, 40
	v_add_nc_u32_sdwa v37, v35, v24 dst_sel:DWORD dst_unused:UNUSED_PAD src0_sel:DWORD src1_sel:WORD_0
	v_sub_nc_u16 v1, v2, v1
	v_and_b32_e32 v13, 0xff, v1
	v_or_b32_e32 v15, 0x80, v13
	v_mul_lo_u16 v1, 0xcd, v15
	v_lshrrev_b16 v29, 13, v1
	v_mad_u64_u32 v[1:2], null, s1, v17, v[14:15]
	v_mul_lo_u16 v2, v29, 40
	v_add_nc_u32_sdwa v38, v37, v29 dst_sel:DWORD dst_unused:UNUSED_PAD src0_sel:DWORD src1_sel:WORD_0
	v_sub_nc_u16 v4, v15, v2
	v_ashrrev_i32_e32 v2, 31, v1
	v_and_b32_e32 v15, 0xff, v4
	v_ashrrev_i32_e32 v4, 31, v3
	v_lshlrev_b64 v[1:2], 2, v[1:2]
	v_or_b32_e32 v6, 0x80, v15
	v_lshlrev_b64 v[3:4], 2, v[3:4]
	v_add_co_u32 v1, vcc_lo, s0, v1
	v_mul_lo_u16 v8, 0xcd, v6
	v_add_co_ci_u32_e64 v2, null, s2, v2, vcc_lo
	v_add_co_u32 v3, vcc_lo, s0, v3
	v_lshrrev_b16 v8, 13, v8
	v_add_co_ci_u32_e64 v4, null, s2, v4, vcc_lo
	global_load_dword v25, v[1:2], off
	v_mul_lo_u16 v16, v8, 40
	global_load_dword v26, v[3:4], off
	v_lshlrev_b64 v[1:2], 2, v[18:19]
	v_sub_nc_u16 v3, v6, v16
	v_add_co_u32 v1, vcc_lo, s0, v1
	v_and_b32_e32 v16, 0xff, v3
	v_lshlrev_b64 v[3:4], 2, v[20:21]
	v_mad_u64_u32 v[21:22], null, v34, s1, v[12:13]
	v_add_co_ci_u32_e64 v2, null, s2, v2, vcc_lo
	v_or_b32_e32 v6, 0x80, v16
	v_mad_u64_u32 v[29:30], null, v38, s1, v[15:16]
	global_load_dword v18, v[1:2], off
	v_add_co_u32 v1, vcc_lo, s0, v3
	v_mul_lo_u16 v3, 0xcd, v6
	v_add_co_ci_u32_e64 v2, null, s2, v4, vcc_lo
	v_ashrrev_i32_e32 v22, 31, v21
	v_ashrrev_i32_e32 v30, 31, v29
	v_lshrrev_b16 v36, 13, v3
	global_load_dword v20, v[1:2], off
	v_mad_u64_u32 v[3:4], null, v35, s1, v[11:12]
	v_lshlrev_b64 v[1:2], 2, v[21:22]
	v_mul_lo_u16 v4, v36, 40
	v_mad_u64_u32 v[21:22], null, v37, s1, v[13:14]
	v_lshlrev_b32_e32 v14, 2, v14
	v_lshlrev_b32_e32 v12, 2, v12
	v_add_co_u32 v1, vcc_lo, s0, v1
	v_add_co_ci_u32_e64 v2, null, s2, v2, vcc_lo
	v_sub_nc_u16 v6, v6, v4
	v_ashrrev_i32_e32 v4, 31, v3
	v_ashrrev_i32_e32 v22, 31, v21
	global_load_dword v24, v[1:2], off
	v_lshlrev_b32_e32 v13, 2, v13
	v_and_b32_e32 v1, 0xff, v6
	v_lshlrev_b64 v[2:3], 2, v[3:4]
	v_lshlrev_b64 v[21:22], 2, v[21:22]
	v_or_b32_e32 v4, 0x80, v1
	v_add_co_u32 v2, vcc_lo, s0, v2
	v_add_co_ci_u32_e64 v3, null, s2, v3, vcc_lo
	v_mul_lo_u16 v6, 0xcd, v4
	v_add_co_u32 v31, vcc_lo, s0, v21
	v_add_co_ci_u32_e64 v32, null, s2, v22, vcc_lo
	v_lshrrev_b16 v39, 13, v6
	s_clause 0x1
	global_load_dword v22, v[2:3], off
	global_load_dword v21, v[31:32], off
	v_lshlrev_b64 v[2:3], 2, v[29:30]
	v_mul_lo_u16 v6, v39, 40
	v_add_nc_u32_sdwa v31, v38, v8 dst_sel:DWORD dst_unused:UNUSED_PAD src0_sel:DWORD src1_sel:WORD_0
	v_sub_nc_u16 v4, v4, v6
	v_add_co_u32 v29, vcc_lo, s0, v2
	v_add_co_ci_u32_e64 v30, null, s2, v3, vcc_lo
	v_and_b32_e32 v2, 0xff, v4
	v_mad_u64_u32 v[3:4], null, v31, s1, v[16:17]
	global_load_dword v23, v[29:30], off
	v_mul_u32_u24_e32 v17, 0xa0, v17
	v_or_b32_e32 v6, 0x80, v2
	v_ashrrev_i32_e32 v4, 31, v3
	v_mul_lo_u16 v8, 0xcd, v6
	v_add3_u32 v45, 0, v17, v14
	v_mul_u32_u24_e32 v14, 0xa0, v27
	v_lshlrev_b32_e32 v27, 2, v5
	v_lshlrev_b64 v[3:4], 2, v[3:4]
	v_add_co_u32 v3, vcc_lo, s0, v3
	v_add_co_ci_u32_e64 v4, null, s2, v4, vcc_lo
	global_load_dword v19, v[3:4], off
	v_lshrrev_b16 v29, 13, v8
	v_mul_lo_u16 v8, v29, 40
	v_sub_nc_u16 v6, v6, v8
	v_and_b32_e32 v3, 0xff, v6
	v_or_b32_e32 v4, 0x80, v3
	v_mul_lo_u16 v6, 0xcd, v4
	v_lshrrev_b16 v32, 13, v6
	v_mul_lo_u16 v6, v32, 40
	v_sub_nc_u16 v4, v4, v6
	v_and_b32_e32 v4, 0xff, v4
	v_or_b32_e32 v6, 0x80, v4
	v_mul_lo_u16 v8, 0xcd, v6
	;; [unrolled: 6-line block ×5, first 2 shown]
	v_lshrrev_b16 v43, 13, v43
	v_mul_lo_u16 v44, v43, 40
	v_sub_nc_u16 v17, v30, v44
	v_mul_u32_u24_e32 v30, 0xa0, v33
	v_add3_u32 v44, 0, v14, v27
	v_lshlrev_b32_e32 v14, 2, v11
	v_add_nc_u32_sdwa v11, v31, v36 dst_sel:DWORD dst_unused:UNUSED_PAD src0_sel:DWORD src1_sel:WORD_0
	v_and_b32_e32 v5, 0xff, v17
	v_mul_u32_u24_e32 v17, 0xa0, v34
	v_add3_u32 v47, 0, v30, v9
	v_or_b32_e32 v27, 0x80, v5
	v_add3_u32 v48, 0, v17, v12
	v_mul_lo_u32 v12, 0xa0, v37
	v_mul_lo_u32 v17, 0xa0, v38
	v_add3_u32 v38, 0, v7, v14
	v_mul_lo_u16 v9, 0xcd, v27
	v_lshrrev_b16 v37, 13, v9
	v_lshlrev_b32_e32 v9, 2, v15
	v_add3_u32 v49, 0, v12, v13
	v_add_nc_u32_sdwa v12, v11, v39 dst_sel:DWORD dst_unused:UNUSED_PAD src0_sel:DWORD src1_sel:WORD_0
	v_mad_u64_u32 v[14:15], null, v11, s1, v[1:2]
	v_mul_lo_u16 v7, v37, 40
	v_add3_u32 v50, 0, v17, v9
	v_mul_lo_u32 v9, 0xa0, v31
	v_add_nc_u32_sdwa v13, v12, v29 dst_sel:DWORD dst_unused:UNUSED_PAD src0_sel:DWORD src1_sel:WORD_0
	v_lshlrev_b32_e32 v29, 2, v16
	v_sub_nc_u16 v7, v27, v7
	v_mad_u64_u32 v[27:28], null, v12, s1, v[2:3]
	v_mad_u64_u32 v[16:17], null, v13, s1, v[3:4]
	v_and_b32_e32 v7, 0xff, v7
	v_add3_u32 v39, 0, v9, v29
	v_ashrrev_i32_e32 v15, 31, v14
	v_lshlrev_b32_e32 v1, 2, v1
	v_ashrrev_i32_e32 v28, 31, v27
	v_or_b32_e32 v33, 0x80, v7
	v_ashrrev_i32_e32 v17, 31, v16
	v_lshlrev_b64 v[29:30], 2, v[14:15]
	v_add_nc_u32_sdwa v14, v13, v32 dst_sel:DWORD dst_unused:UNUSED_PAD src0_sel:DWORD src1_sel:WORD_0
	v_lshlrev_b64 v[27:28], 2, v[27:28]
	v_mul_lo_u16 v9, 0xcd, v33
	v_lshlrev_b64 v[15:16], 2, v[16:17]
	v_lshlrev_b32_e32 v2, 2, v2
	v_mad_u64_u32 v[31:32], null, v14, s1, v[4:5]
	v_lshrrev_b16 v51, 13, v9
	v_add_co_u32 v29, vcc_lo, s0, v29
	v_add_co_ci_u32_e64 v30, null, s2, v30, vcc_lo
	v_mul_lo_u16 v9, v51, 40
	v_add_co_u32 v27, vcc_lo, s0, v27
	v_add_co_ci_u32_e64 v28, null, s2, v28, vcc_lo
	v_sub_nc_u16 v9, v33, v9
	v_add_co_u32 v33, vcc_lo, s0, v15
	v_add_nc_u32_sdwa v15, v14, v40 dst_sel:DWORD dst_unused:UNUSED_PAD src0_sel:DWORD src1_sel:WORD_0
	v_ashrrev_i32_e32 v32, 31, v31
	v_and_b32_e32 v9, 0xff, v9
	v_add_co_ci_u32_e64 v34, null, s2, v16, vcc_lo
	v_mad_u64_u32 v[35:36], null, v15, s1, v[6:7]
	v_lshlrev_b64 v[31:32], 2, v[31:32]
	v_or_b32_e32 v40, 0x80, v9
	v_add_nc_u32_sdwa v16, v15, v41 dst_sel:DWORD dst_unused:UNUSED_PAD src0_sel:DWORD src1_sel:WORD_0
	s_waitcnt vmcnt(8)
	ds_write_b32 v45, v25
	s_waitcnt vmcnt(7)
	ds_write_b32 v44, v26
	v_lshlrev_b32_e32 v3, 2, v3
	v_ashrrev_i32_e32 v36, 31, v35
	v_mul_lo_u16 v17, 0xcd, v40
	v_add_co_u32 v25, vcc_lo, s0, v31
	v_add_co_ci_u32_e64 v26, null, s2, v32, vcc_lo
	v_add_nc_u32_sdwa v54, v16, v42 dst_sel:DWORD dst_unused:UNUSED_PAD src0_sel:DWORD src1_sel:WORD_0
	s_clause 0x3
	global_load_dword v44, v[29:30], off
	global_load_dword v45, v[27:28], off
	;; [unrolled: 1-line block ×4, first 2 shown]
	v_lshlrev_b64 v[25:26], 2, v[35:36]
	v_lshrrev_b16 v35, 13, v17
	s_waitcnt vmcnt(10)
	ds_write_b32 v46, v18
	v_mad_u64_u32 v[17:18], null, v54, s1, v[10:11]
	v_mad_u64_u32 v[31:32], null, v16, s1, v[8:9]
	v_mul_lo_u16 v18, v35, 40
	s_waitcnt vmcnt(9)
	ds_write_b32 v47, v20
	v_add_nc_u32_sdwa v46, v54, v43 dst_sel:DWORD dst_unused:UNUSED_PAD src0_sel:DWORD src1_sel:WORD_0
	v_add_co_u32 v25, vcc_lo, s0, v25
	v_sub_nc_u16 v29, v40, v18
	v_ashrrev_i32_e32 v32, 31, v31
	v_ashrrev_i32_e32 v18, 31, v17
	v_add_nc_u32_sdwa v47, v46, v37 dst_sel:DWORD dst_unused:UNUSED_PAD src0_sel:DWORD src1_sel:WORD_0
	s_waitcnt vmcnt(8)
	ds_write_b32 v48, v24
	v_and_b32_e32 v20, 0xff, v29
	v_lshlrev_b64 v[27:28], 2, v[31:32]
	v_lshlrev_b64 v[17:18], 2, v[17:18]
	v_add_nc_u32_sdwa v48, v47, v51 dst_sel:DWORD dst_unused:UNUSED_PAD src0_sel:DWORD src1_sel:WORD_0
	v_add_co_ci_u32_e64 v26, null, s2, v26, vcc_lo
	v_or_b32_e32 v36, 0x80, v20
	v_add_co_u32 v27, vcc_lo, s0, v27
	v_mad_u64_u32 v[29:30], null, v46, s1, v[5:6]
	v_mul_lo_u16 v24, 0xcd, v36
	v_add_co_ci_u32_e64 v28, null, s2, v28, vcc_lo
	v_mad_u64_u32 v[31:32], null, v47, s1, v[7:8]
	v_add_co_u32 v17, vcc_lo, s0, v17
	v_add_co_ci_u32_e64 v18, null, s2, v18, vcc_lo
	v_lshrrev_b16 v37, 13, v24
	v_mad_u64_u32 v[33:34], null, v48, s1, v[9:10]
	v_ashrrev_i32_e32 v30, 31, v29
	s_clause 0x2
	global_load_dword v51, v[25:26], off
	global_load_dword v55, v[27:28], off
	;; [unrolled: 1-line block ×3, first 2 shown]
	v_mul_lo_u16 v26, v37, 40
	v_ashrrev_i32_e32 v32, 31, v31
	v_ashrrev_i32_e32 v34, 31, v33
	v_lshlrev_b64 v[24:25], 2, v[29:30]
	s_waitcnt vmcnt(10)
	ds_write_b32 v38, v22
	v_sub_nc_u16 v26, v36, v26
	v_lshlrev_b64 v[29:30], 2, v[31:32]
	s_waitcnt vmcnt(9)
	ds_write_b32 v49, v21
	v_lshlrev_b64 v[21:22], 2, v[33:34]
	v_add_co_u32 v24, vcc_lo, s0, v24
	v_and_b32_e32 v26, 0xff, v26
	v_add_co_ci_u32_e64 v25, null, s2, v25, vcc_lo
	v_add_co_u32 v29, vcc_lo, s0, v29
	v_add_co_ci_u32_e64 v30, null, s2, v30, vcc_lo
	v_add_nc_u32_sdwa v49, v48, v35 dst_sel:DWORD dst_unused:UNUSED_PAD src0_sel:DWORD src1_sel:WORD_0
	v_add_co_u32 v21, vcc_lo, s0, v21
	s_waitcnt vmcnt(8)
	ds_write_b32 v50, v23
	v_or_b32_e32 v23, 0x80, v26
	v_add_nc_u32_sdwa v50, v49, v37 dst_sel:DWORD dst_unused:UNUSED_PAD src0_sel:DWORD src1_sel:WORD_0
	v_mad_u64_u32 v[31:32], null, v49, s1, v[20:21]
	v_add_co_ci_u32_e64 v22, null, s2, v22, vcc_lo
	v_mul_lo_u16 v32, 0xcd, v23
	v_mad_u64_u32 v[33:34], null, v50, s1, v[26:27]
	s_waitcnt vmcnt(7)
	ds_write_b32 v39, v19
	v_mul_lo_u32 v11, 0xa0, v11
	v_lshrrev_b16 v35, 13, v32
	v_ashrrev_i32_e32 v32, 31, v31
	v_lshlrev_b32_e32 v4, 2, v4
	v_lshlrev_b32_e32 v6, 2, v6
	v_ashrrev_i32_e32 v34, 31, v33
	v_mul_lo_u16 v36, v35, 40
	v_add_nc_u32_sdwa v57, v50, v35 dst_sel:DWORD dst_unused:UNUSED_PAD src0_sel:DWORD src1_sel:WORD_0
	v_lshlrev_b64 v[27:28], 2, v[31:32]
	v_add3_u32 v1, 0, v11, v1
	v_lshlrev_b64 v[17:18], 2, v[33:34]
	v_sub_nc_u16 v19, v23, v36
	v_mul_lo_u32 v11, 0xa0, v12
	v_add_co_u32 v27, vcc_lo, s0, v27
	v_and_b32_e32 v19, 0xff, v19
	v_add_co_ci_u32_e64 v28, null, s2, v28, vcc_lo
	v_add_co_u32 v17, vcc_lo, s0, v17
	v_or_b32_e32 v23, 0x80, v19
	v_mad_u64_u32 v[31:32], null, v57, s1, v[19:20]
	v_add_co_ci_u32_e64 v18, null, s2, v18, vcc_lo
	v_mul_lo_u16 v33, 0xcd, v23
	v_add3_u32 v2, 0, v11, v2
	v_mul_lo_u32 v11, 0xa0, v13
	v_ashrrev_i32_e32 v32, 31, v31
	v_lshrrev_b16 v33, 13, v33
	v_lshlrev_b64 v[31:32], 2, v[31:32]
	v_mul_lo_u16 v34, v33, 40
	v_add_nc_u32_sdwa v58, v57, v33 dst_sel:DWORD dst_unused:UNUSED_PAD src0_sel:DWORD src1_sel:WORD_0
	v_add3_u32 v3, 0, v11, v3
	v_mul_lo_u32 v11, 0xa0, v14
	v_sub_nc_u16 v23, v23, v34
	v_add_co_u32 v31, vcc_lo, s0, v31
	v_add_co_ci_u32_e64 v32, null, s2, v32, vcc_lo
	v_and_b32_e32 v23, 0xff, v23
	v_add3_u32 v4, 0, v11, v4
	v_mul_lo_u32 v11, 0xa0, v15
	v_or_b32_e32 v35, 0x80, v23
	v_mad_u64_u32 v[33:34], null, v58, s1, v[23:24]
	v_mul_lo_u16 v36, 0xcd, v35
	v_ashrrev_i32_e32 v34, 31, v33
	v_lshrrev_b16 v36, 13, v36
	v_lshlrev_b64 v[33:34], 2, v[33:34]
	v_mul_lo_u16 v37, v36, 40
	v_add_nc_u32_sdwa v59, v58, v36 dst_sel:DWORD dst_unused:UNUSED_PAD src0_sel:DWORD src1_sel:WORD_0
	v_sub_nc_u16 v35, v35, v37
	v_add_co_u32 v33, vcc_lo, s0, v33
	v_add_co_ci_u32_e64 v34, null, s2, v34, vcc_lo
	v_and_b32_e32 v35, 0xff, v35
	v_or_b32_e32 v38, 0x80, v35
	v_mad_u64_u32 v[36:37], null, v59, s1, v[35:36]
	v_mul_lo_u16 v39, 0xcd, v38
	v_ashrrev_i32_e32 v37, 31, v36
	v_lshrrev_b16 v39, 13, v39
	v_lshlrev_b64 v[36:37], 2, v[36:37]
	v_mul_lo_u16 v40, v39, 40
	v_add_nc_u32_sdwa v60, v59, v39 dst_sel:DWORD dst_unused:UNUSED_PAD src0_sel:DWORD src1_sel:WORD_0
	v_sub_nc_u16 v38, v38, v40
	v_add_co_u32 v36, vcc_lo, s0, v36
	v_add_co_ci_u32_e64 v37, null, s2, v37, vcc_lo
	v_and_b32_e32 v38, 0xff, v38
	;; [unrolled: 12-line block ×3, first 2 shown]
	v_mad_u64_u32 v[42:43], null, v61, s1, v[41:42]
	v_ashrrev_i32_e32 v43, 31, v42
	v_lshlrev_b64 v[42:43], 2, v[42:43]
	v_add_co_u32 v42, vcc_lo, s0, v42
	v_add_co_ci_u32_e64 v43, null, s2, v43, vcc_lo
	s_clause 0x9
	global_load_dword v24, v[24:25], off
	global_load_dword v25, v[29:30], off
	;; [unrolled: 1-line block ×10, first 2 shown]
	s_waitcnt vmcnt(16)
	ds_write_b32 v1, v44
	s_waitcnt vmcnt(15)
	ds_write_b32 v2, v45
	;; [unrolled: 2-line block ×4, first 2 shown]
	v_mul_lo_u32 v2, 0xa0, v16
	v_mul_lo_u32 v4, 0xa0, v54
	v_add3_u32 v1, 0, v11, v6
	v_lshlrev_b32_e32 v3, 2, v8
	v_lshlrev_b32_e32 v6, 2, v10
	v_mul_lo_u32 v8, 0xa0, v46
	v_mul_lo_u32 v10, 0xa0, v47
	v_add3_u32 v2, 0, v2, v3
	v_add3_u32 v3, 0, v4, v6
	v_mul_lo_u32 v4, 0xa0, v48
	v_lshlrev_b32_e32 v6, 2, v9
	v_lshlrev_b32_e32 v9, 2, v38
	s_waitcnt vmcnt(12)
	ds_write_b32 v1, v51
	v_lshlrev_b32_e32 v1, 2, v5
	v_lshlrev_b32_e32 v5, 2, v7
	;; [unrolled: 1-line block ×3, first 2 shown]
	v_add3_u32 v1, 0, v8, v1
	v_add3_u32 v5, 0, v10, v5
	v_lshlrev_b32_e32 v8, 2, v35
	v_lshlrev_b32_e32 v10, 2, v41
	s_waitcnt vmcnt(11)
	ds_write_b32 v2, v55
	s_waitcnt vmcnt(10)
	ds_write_b32 v3, v56
	;; [unrolled: 2-line block ×4, first 2 shown]
	v_add3_u32 v1, 0, v4, v6
	v_mul_lo_u32 v2, 0xa0, v49
	v_mul_lo_u32 v3, 0xa0, v50
	v_lshlrev_b32_e32 v4, 2, v20
	v_lshlrev_b32_e32 v5, 2, v26
	s_waitcnt vmcnt(7)
	ds_write_b32 v1, v21
	v_or_b32_e32 v1, 0x80, v41
	v_mul_lo_u32 v6, 0xa0, v57
	v_add3_u32 v2, 0, v2, v4
	v_add3_u32 v3, 0, v3, v5
	v_mul_lo_u16 v5, 0xcd, v1
	v_mul_lo_u32 v4, 0xa0, v58
	s_waitcnt vmcnt(6)
	ds_write_b32 v2, v22
	s_waitcnt vmcnt(5)
	ds_write_b32 v3, v17
	v_add3_u32 v6, 0, v6, v7
	v_lshrrev_b16 v2, 13, v5
	v_lshlrev_b32_e32 v7, 2, v23
	v_mul_lo_u32 v5, 0xa0, v60
	s_waitcnt vmcnt(4)
	ds_write_b32 v6, v18
	v_mul_lo_u16 v6, v2, 40
	v_add3_u32 v3, 0, v4, v7
	v_mul_lo_u32 v4, 0xa0, v59
	v_mul_lo_u32 v7, 0xa0, v61
	v_add_nc_u32_sdwa v2, v61, v2 dst_sel:DWORD dst_unused:UNUSED_PAD src0_sel:DWORD src1_sel:WORD_0
	v_sub_nc_u16 v1, v1, v6
	v_add3_u32 v5, 0, v5, v9
	v_and_b32_e32 v1, 0xff, v1
	v_add3_u32 v4, 0, v4, v8
	v_add3_u32 v6, 0, v7, v10
	s_waitcnt vmcnt(3)
	ds_write_b32 v3, v27
	s_waitcnt vmcnt(2)
	ds_write_b32 v4, v28
	s_waitcnt vmcnt(1)
	ds_write_b32 v5, v29
	s_waitcnt vmcnt(0)
	ds_write_b32 v6, v30
	v_cmpx_gt_u32_e32 0x80, v2
	s_cbranch_execz .LBB7_2
; %bb.1:
	v_mad_u64_u32 v[3:4], null, v2, s1, v[1:2]
	v_lshlrev_b32_e32 v5, 2, v1
	v_ashrrev_i32_e32 v4, 31, v3
	v_lshlrev_b64 v[3:4], 2, v[3:4]
	v_add_co_u32 v3, vcc_lo, s0, v3
	v_add_co_ci_u32_e64 v4, null, s2, v4, vcc_lo
	global_load_dword v3, v[3:4], off
	v_mul_lo_u32 v4, 0xa0, v2
	v_add3_u32 v4, 0, v4, v5
	s_waitcnt vmcnt(0)
	ds_write_b32 v4, v3
.LBB7_2:
	s_or_b32 exec_lo, exec_lo, s7
	v_or_b32_e32 v1, 0x80, v1
	s_mov_b32 s7, exec_lo
	v_mul_lo_u16 v3, 0xcd, v1
	v_lshrrev_b16 v3, 13, v3
	v_mul_lo_u16 v4, v3, 40
	v_add_nc_u32_sdwa v2, v2, v3 dst_sel:DWORD dst_unused:UNUSED_PAD src0_sel:DWORD src1_sel:WORD_0
	v_sub_nc_u16 v1, v1, v4
	v_and_b32_e32 v1, 0xff, v1
	v_cmpx_gt_u32_e32 0x80, v2
	s_cbranch_execz .LBB7_4
; %bb.3:
	v_mad_u64_u32 v[3:4], null, v2, s1, v[1:2]
	v_lshlrev_b32_e32 v5, 2, v1
	v_ashrrev_i32_e32 v4, 31, v3
	v_lshlrev_b64 v[3:4], 2, v[3:4]
	v_add_co_u32 v3, vcc_lo, s0, v3
	v_add_co_ci_u32_e64 v4, null, s2, v4, vcc_lo
	global_load_dword v3, v[3:4], off
	v_mul_lo_u32 v4, 0xa0, v2
	v_add3_u32 v4, 0, v4, v5
	s_waitcnt vmcnt(0)
	ds_write_b32 v4, v3
.LBB7_4:
	s_or_b32 exec_lo, exec_lo, s7
	v_or_b32_e32 v1, 0x80, v1
	s_mov_b32 s7, exec_lo
	v_mul_lo_u16 v3, 0xcd, v1
	v_lshrrev_b16 v3, 13, v3
	v_mul_lo_u16 v4, v3, 40
	v_add_nc_u32_sdwa v2, v2, v3 dst_sel:DWORD dst_unused:UNUSED_PAD src0_sel:DWORD src1_sel:WORD_0
	v_sub_nc_u16 v1, v1, v4
	v_and_b32_e32 v1, 0xff, v1
	;; [unrolled: 24-line block ×6, first 2 shown]
	v_cmpx_gt_u32_e32 0x80, v2
	s_cbranch_execz .LBB7_14
; %bb.13:
	v_mad_u64_u32 v[3:4], null, v2, s1, v[1:2]
	v_lshlrev_b32_e32 v5, 2, v1
	v_ashrrev_i32_e32 v4, 31, v3
	v_lshlrev_b64 v[3:4], 2, v[3:4]
	v_add_co_u32 v3, vcc_lo, s0, v3
	v_add_co_ci_u32_e64 v4, null, s2, v4, vcc_lo
	global_load_dword v3, v[3:4], off
	v_mul_lo_u32 v4, 0xa0, v2
	v_add3_u32 v4, 0, v4, v5
	s_waitcnt vmcnt(0)
	ds_write_b32 v4, v3
.LBB7_14:
	s_or_b32 exec_lo, exec_lo, s7
	s_clause 0x1
	s_load_dwordx4 s[8:11], s[4:5], 0x8
	s_load_dwordx2 s[16:17], s[4:5], 0x28
	s_mov_b32 s7, exec_lo
	v_cmpx_gt_u32_e32 0x380, v0
	s_cbranch_execz .LBB7_35
; %bb.15:
	v_or_b32_e32 v1, 0x80, v1
	s_mov_b32 s18, exec_lo
	v_mul_lo_u16 v3, 0xcd, v1
	v_lshrrev_b16 v3, 13, v3
	v_mul_lo_u16 v4, v3, 40
	v_add_nc_u32_sdwa v2, v2, v3 dst_sel:DWORD dst_unused:UNUSED_PAD src0_sel:DWORD src1_sel:WORD_0
	v_sub_nc_u16 v1, v1, v4
	v_and_b32_e32 v1, 0xff, v1
	v_cmpx_gt_u32_e32 0x80, v2
	s_cbranch_execz .LBB7_17
; %bb.16:
	v_mad_u64_u32 v[3:4], null, v2, s1, v[1:2]
	v_lshlrev_b32_e32 v5, 2, v1
	v_ashrrev_i32_e32 v4, 31, v3
	v_lshlrev_b64 v[3:4], 2, v[3:4]
	v_add_co_u32 v3, vcc_lo, s0, v3
	v_add_co_ci_u32_e64 v4, null, s2, v4, vcc_lo
	global_load_dword v3, v[3:4], off
	v_mul_lo_u32 v4, 0xa0, v2
	v_add3_u32 v4, 0, v4, v5
	s_waitcnt vmcnt(0)
	ds_write_b32 v4, v3
.LBB7_17:
	s_or_b32 exec_lo, exec_lo, s18
	v_cmp_gt_u32_e32 vcc_lo, 0x300, v0
	s_and_b32 exec_lo, exec_lo, vcc_lo
	s_cbranch_execz .LBB7_35
; %bb.18:
	v_or_b32_e32 v1, 0x80, v1
	s_mov_b32 s18, exec_lo
	v_mul_lo_u16 v3, 0xcd, v1
	v_lshrrev_b16 v3, 13, v3
	v_mul_lo_u16 v4, v3, 40
	v_add_nc_u32_sdwa v2, v2, v3 dst_sel:DWORD dst_unused:UNUSED_PAD src0_sel:DWORD src1_sel:WORD_0
	v_sub_nc_u16 v1, v1, v4
	v_and_b32_e32 v1, 0xff, v1
	v_cmpx_gt_u32_e32 0x80, v2
	s_cbranch_execz .LBB7_20
; %bb.19:
	v_mad_u64_u32 v[3:4], null, v2, s1, v[1:2]
	v_lshlrev_b32_e32 v5, 2, v1
	v_ashrrev_i32_e32 v4, 31, v3
	v_lshlrev_b64 v[3:4], 2, v[3:4]
	v_add_co_u32 v3, vcc_lo, s0, v3
	v_add_co_ci_u32_e64 v4, null, s2, v4, vcc_lo
	global_load_dword v3, v[3:4], off
	v_mul_lo_u32 v4, 0xa0, v2
	v_add3_u32 v4, 0, v4, v5
	s_waitcnt vmcnt(0)
	ds_write_b32 v4, v3
.LBB7_20:
	s_or_b32 exec_lo, exec_lo, s18
	v_cmp_gt_u32_e32 vcc_lo, 0x280, v0
	s_and_b32 exec_lo, exec_lo, vcc_lo
	;; [unrolled: 28-line block ×6, first 2 shown]
	s_cbranch_execz .LBB7_35
; %bb.33:
	v_or_b32_e32 v3, 0x80, v1
	v_mul_lo_u16 v1, 0xcd, v3
	v_lshrrev_b16 v4, 13, v1
	v_add_nc_u32_sdwa v1, v2, v4 dst_sel:DWORD dst_unused:UNUSED_PAD src0_sel:DWORD src1_sel:WORD_0
	v_cmp_gt_u32_e32 vcc_lo, 0x80, v1
	s_and_b32 exec_lo, exec_lo, vcc_lo
	s_cbranch_execz .LBB7_35
; %bb.34:
	v_mul_lo_u16 v2, v4, 40
	v_sub_nc_u16 v2, v3, v2
	v_and_b32_e32 v2, 0xff, v2
	v_mad_u64_u32 v[3:4], null, v1, s1, v[2:3]
	v_mul_lo_u32 v1, 0xa0, v1
	v_lshlrev_b32_e32 v2, 2, v2
	v_ashrrev_i32_e32 v4, 31, v3
	v_add3_u32 v1, 0, v1, v2
	v_lshlrev_b64 v[3:4], 2, v[3:4]
	v_add_co_u32 v3, vcc_lo, s0, v3
	v_add_co_ci_u32_e64 v4, null, s2, v4, vcc_lo
	global_load_dword v3, v[3:4], off
	s_waitcnt vmcnt(0)
	ds_write_b32 v1, v3
.LBB7_35:
	s_or_b32 exec_lo, exec_lo, s7
	s_ashr_i32 s0, s3, 31
	s_mul_hi_u32 s1, s12, s3
	s_mul_i32 s0, s12, s0
	s_mul_i32 s2, s13, s3
	s_add_i32 s0, s1, s0
	s_mul_i32 s1, s12, s3
	s_add_i32 s0, s0, s2
	s_waitcnt lgkmcnt(0)
	s_add_u32 s1, s8, s1
	s_addc_u32 s0, s9, s0
	s_ashr_i32 s2, s3, 2
	v_mul_lo_u32 v1, s2, v0
	s_barrier
	buffer_gl0_inv
	v_lshlrev_b32_e32 v10, 2, v0
	s_cmp_eq_u64 s[10:11], 0
	v_ashrrev_i32_e32 v2, 31, v1
	v_lshlrev_b64 v[1:2], 2, v[1:2]
	v_add_co_u32 v5, vcc_lo, s1, v1
	v_add_co_ci_u32_e64 v6, null, s0, v2, vcc_lo
	s_clause 0x2
	global_load_dword v13, v[5:6], off offset:32
	global_load_dwordx4 v[1:4], v[5:6], off offset:16
	global_load_dwordx4 v[5:8], v[5:6], off
	s_cbranch_scc1 .LBB7_37
; %bb.36:
	s_lshl_b64 s[0:1], s[12:13], 2
	s_add_u32 s0, s10, s0
	s_addc_u32 s1, s11, s1
	global_load_dword v14, v10, s[0:1]
	s_branch .LBB7_38
.LBB7_37:
	v_mov_b32_e32 v14, 0
.LBB7_38:
	s_load_dwordx2 s[0:1], s[4:5], 0x40
	s_waitcnt lgkmcnt(0)
	s_sub_u32 s8, s0, s14
	s_subb_u32 s9, s1, s15
	v_cmp_lt_i64_e64 s0, s[8:9], 1
	s_and_b32 vcc_lo, exec_lo, s0
	s_cbranch_vccnz .LBB7_41
; %bb.39:
	s_load_dwordx4 s[0:3], s[4:5], 0x30
	v_mad_u32_u24 v0, 0xa0, v0, 0
	v_cmp_lt_u64_e64 s4, s[8:9], 32
	ds_read_b32 v9, v0
	s_waitcnt lgkmcnt(0)
	s_ashr_i32 s3, s1, 31
	s_ashr_i32 s11, s0, 31
	s_mul_i32 s5, s2, s6
	s_mul_hi_u32 s6, s14, s1
	s_mul_i32 s7, s15, s1
	s_mul_i32 s10, s14, s1
	s_mul_hi_u32 s15, s12, s0
	s_mul_i32 s13, s13, s0
	s_mul_i32 s18, s12, s0
	s_ashr_i32 s2, s1, 2
	s_mul_i32 s0, s14, s3
	s_mul_i32 s1, s12, s11
	s_add_i32 s0, s6, s0
	s_add_i32 s1, s15, s1
	s_ashr_i32 s19, s5, 31
	s_ashr_i32 s3, s2, 31
	s_add_i32 s6, s0, s7
	s_add_i32 s7, s1, s13
	s_and_b32 s0, s4, exec_lo
	s_cselect_b32 s1, s9, 0
	s_cselect_b32 s0, s8, 32
	s_add_u32 s4, s18, s10
	s_addc_u32 s6, s7, s6
	s_add_u32 s5, s16, s5
	s_addc_u32 s7, s17, s19
	;; [unrolled: 2-line block ×3, first 2 shown]
	v_add_co_u32 v11, s4, s4, v10
	v_add_co_ci_u32_e64 v12, null, s5, 0, s4
	s_lshl_b64 s[2:3], s[2:3], 2
.LBB7_40:                               ; =>This Inner Loop Header: Depth=1
	s_waitcnt vmcnt(0)
	v_fma_f32 v21, v5, v9, 0
	ds_read2_b32 v[9:10], v0 offset0:1 offset1:2
	ds_read2_b32 v[15:16], v0 offset0:3 offset1:4
	;; [unrolled: 1-line block ×4, first 2 shown]
	v_add_nc_u32_e32 v22, 4, v0
	s_add_u32 s0, s0, -1
	s_addc_u32 s1, s1, -1
	s_cmp_lg_u64 s[0:1], 0
	s_waitcnt lgkmcnt(3)
	v_fmac_f32_e32 v21, v6, v9
	v_fmac_f32_e32 v21, v7, v10
	s_waitcnt lgkmcnt(2)
	v_fmac_f32_e32 v21, v8, v15
	v_fmac_f32_e32 v21, v1, v16
	;; [unrolled: 3-line block ×4, first 2 shown]
	v_add_f32_e32 v10, v14, v21
	v_mul_f32_e32 v0, 0xbfb8aa3b, v10
	v_cmp_nlt_f32_e32 vcc_lo, 0x42ce8ed0, v10
	v_fma_f32 v15, 0xbfb8aa3b, v10, -v0
	v_rndne_f32_e32 v16, v0
	v_fmac_f32_e32 v15, 0xb2a5705f, v10
	v_sub_f32_e32 v0, v0, v16
	v_add_f32_e32 v0, v0, v15
	v_cvt_i32_f32_e32 v15, v16
	v_exp_f32_e32 v0, v0
	v_ldexp_f32 v0, v0, v15
	v_cndmask_b32_e32 v0, 0, v0, vcc_lo
	v_cmp_ngt_f32_e32 vcc_lo, 0xc2b17218, v10
	v_cndmask_b32_e32 v0, 0x7f800000, v0, vcc_lo
	v_add_f32_e32 v15, 1.0, v0
	v_mov_b32_e32 v0, v22
	v_div_scale_f32 v16, null, v15, v15, v10
	v_div_scale_f32 v18, vcc_lo, v10, v15, v10
	v_rcp_f32_e32 v17, v16
	v_fma_f32 v19, -v16, v17, 1.0
	v_fmac_f32_e32 v17, v19, v17
	v_mul_f32_e32 v19, v18, v17
	v_fma_f32 v20, -v16, v19, v18
	v_fmac_f32_e32 v19, v20, v17
	v_fma_f32 v16, -v16, v19, v18
	v_div_fmas_f32 v16, v16, v17, v19
	v_div_fixup_f32 v10, v16, v15, v10
	global_store_dword v[11:12], v10, off
	v_add_co_u32 v11, vcc_lo, v11, s2
	v_add_co_ci_u32_e64 v12, null, s3, v12, vcc_lo
	s_cbranch_scc1 .LBB7_40
.LBB7_41:
	s_endpgm
	.section	.rodata,"a",@progbits
	.p2align	6, 0x0
	.amdhsa_kernel _ZL23ssm_conv_long_token_f32ILb1ELm128ELm9ELl32EEvPKfS1_S1_iiiiPfiiil
		.amdhsa_group_segment_fixed_size 0
		.amdhsa_private_segment_fixed_size 0
		.amdhsa_kernarg_size 72
		.amdhsa_user_sgpr_count 6
		.amdhsa_user_sgpr_private_segment_buffer 1
		.amdhsa_user_sgpr_dispatch_ptr 0
		.amdhsa_user_sgpr_queue_ptr 0
		.amdhsa_user_sgpr_kernarg_segment_ptr 1
		.amdhsa_user_sgpr_dispatch_id 0
		.amdhsa_user_sgpr_flat_scratch_init 0
		.amdhsa_user_sgpr_private_segment_size 0
		.amdhsa_wavefront_size32 1
		.amdhsa_uses_dynamic_stack 0
		.amdhsa_system_sgpr_private_segment_wavefront_offset 0
		.amdhsa_system_sgpr_workgroup_id_x 1
		.amdhsa_system_sgpr_workgroup_id_y 1
		.amdhsa_system_sgpr_workgroup_id_z 1
		.amdhsa_system_sgpr_workgroup_info 0
		.amdhsa_system_vgpr_workitem_id 0
		.amdhsa_next_free_vgpr 62
		.amdhsa_next_free_sgpr 20
		.amdhsa_reserve_vcc 1
		.amdhsa_reserve_flat_scratch 0
		.amdhsa_float_round_mode_32 0
		.amdhsa_float_round_mode_16_64 0
		.amdhsa_float_denorm_mode_32 3
		.amdhsa_float_denorm_mode_16_64 3
		.amdhsa_dx10_clamp 1
		.amdhsa_ieee_mode 1
		.amdhsa_fp16_overflow 0
		.amdhsa_workgroup_processor_mode 1
		.amdhsa_memory_ordered 1
		.amdhsa_forward_progress 1
		.amdhsa_shared_vgpr_count 0
		.amdhsa_exception_fp_ieee_invalid_op 0
		.amdhsa_exception_fp_denorm_src 0
		.amdhsa_exception_fp_ieee_div_zero 0
		.amdhsa_exception_fp_ieee_overflow 0
		.amdhsa_exception_fp_ieee_underflow 0
		.amdhsa_exception_fp_ieee_inexact 0
		.amdhsa_exception_int_div_zero 0
	.end_amdhsa_kernel
	.section	.text._ZL23ssm_conv_long_token_f32ILb1ELm128ELm9ELl32EEvPKfS1_S1_iiiiPfiiil,"axG",@progbits,_ZL23ssm_conv_long_token_f32ILb1ELm128ELm9ELl32EEvPKfS1_S1_iiiiPfiiil,comdat
.Lfunc_end7:
	.size	_ZL23ssm_conv_long_token_f32ILb1ELm128ELm9ELl32EEvPKfS1_S1_iiiiPfiiil, .Lfunc_end7-_ZL23ssm_conv_long_token_f32ILb1ELm128ELm9ELl32EEvPKfS1_S1_iiiiPfiiil
                                        ; -- End function
	.set _ZL23ssm_conv_long_token_f32ILb1ELm128ELm9ELl32EEvPKfS1_S1_iiiiPfiiil.num_vgpr, 62
	.set _ZL23ssm_conv_long_token_f32ILb1ELm128ELm9ELl32EEvPKfS1_S1_iiiiPfiiil.num_agpr, 0
	.set _ZL23ssm_conv_long_token_f32ILb1ELm128ELm9ELl32EEvPKfS1_S1_iiiiPfiiil.numbered_sgpr, 20
	.set _ZL23ssm_conv_long_token_f32ILb1ELm128ELm9ELl32EEvPKfS1_S1_iiiiPfiiil.num_named_barrier, 0
	.set _ZL23ssm_conv_long_token_f32ILb1ELm128ELm9ELl32EEvPKfS1_S1_iiiiPfiiil.private_seg_size, 0
	.set _ZL23ssm_conv_long_token_f32ILb1ELm128ELm9ELl32EEvPKfS1_S1_iiiiPfiiil.uses_vcc, 1
	.set _ZL23ssm_conv_long_token_f32ILb1ELm128ELm9ELl32EEvPKfS1_S1_iiiiPfiiil.uses_flat_scratch, 0
	.set _ZL23ssm_conv_long_token_f32ILb1ELm128ELm9ELl32EEvPKfS1_S1_iiiiPfiiil.has_dyn_sized_stack, 0
	.set _ZL23ssm_conv_long_token_f32ILb1ELm128ELm9ELl32EEvPKfS1_S1_iiiiPfiiil.has_recursion, 0
	.set _ZL23ssm_conv_long_token_f32ILb1ELm128ELm9ELl32EEvPKfS1_S1_iiiiPfiiil.has_indirect_call, 0
	.section	.AMDGPU.csdata,"",@progbits
; Kernel info:
; codeLenInByte = 6796
; TotalNumSgprs: 22
; NumVgprs: 62
; ScratchSize: 0
; MemoryBound: 0
; FloatMode: 240
; IeeeMode: 1
; LDSByteSize: 0 bytes/workgroup (compile time only)
; SGPRBlocks: 0
; VGPRBlocks: 7
; NumSGPRsForWavesPerEU: 22
; NumVGPRsForWavesPerEU: 62
; Occupancy: 16
; WaveLimiterHint : 0
; COMPUTE_PGM_RSRC2:SCRATCH_EN: 0
; COMPUTE_PGM_RSRC2:USER_SGPR: 6
; COMPUTE_PGM_RSRC2:TRAP_HANDLER: 0
; COMPUTE_PGM_RSRC2:TGID_X_EN: 1
; COMPUTE_PGM_RSRC2:TGID_Y_EN: 1
; COMPUTE_PGM_RSRC2:TGID_Z_EN: 1
; COMPUTE_PGM_RSRC2:TIDIG_COMP_CNT: 0
	.section	.text._ZL12ssm_conv_f32ILb1ELm128ELm15EEvPKfS1_S1_iiiiPfiiil,"axG",@progbits,_ZL12ssm_conv_f32ILb1ELm128ELm15EEvPKfS1_S1_iiiiPfiiil,comdat
	.globl	_ZL12ssm_conv_f32ILb1ELm128ELm15EEvPKfS1_S1_iiiiPfiiil ; -- Begin function _ZL12ssm_conv_f32ILb1ELm128ELm15EEvPKfS1_S1_iiiiPfiiil
	.p2align	8
	.type	_ZL12ssm_conv_f32ILb1ELm128ELm15EEvPKfS1_S1_iiiiPfiiil,@function
_ZL12ssm_conv_f32ILb1ELm128ELm15EEvPKfS1_S1_iiiiPfiiil: ; @_ZL12ssm_conv_f32ILb1ELm128ELm15EEvPKfS1_S1_iiiiPfiiil
; %bb.0:
	s_clause 0x2
	s_load_dwordx4 s[12:15], s[4:5], 0x1c
	s_load_dwordx4 s[0:3], s[4:5], 0x0
	s_load_dwordx2 s[8:9], s[4:5], 0x10
	s_mov_b32 s10, s7
	s_ashr_i32 s11, s7, 31
	v_lshlrev_b32_e32 v15, 2, v0
	s_lshl_b64 s[16:17], s[10:11], 7
	s_lshr_b64 s[10:11], s[10:11], 25
	s_waitcnt lgkmcnt(0)
	s_ashr_i32 s7, s14, 31
	s_mul_hi_u32 s11, s16, s14
	s_mul_i32 s7, s16, s7
	s_mul_i32 s10, s10, s14
	s_add_i32 s7, s11, s7
	s_mul_i32 s11, s16, s14
	s_add_i32 s7, s7, s10
	s_add_u32 s19, s2, s11
	s_addc_u32 s20, s3, s7
	s_cmp_eq_u64 s[8:9], 0
	s_cbranch_scc1 .LBB8_2
; %bb.1:
	s_lshl_b64 s[2:3], s[16:17], 2
	s_add_u32 s2, s8, s2
	s_addc_u32 s3, s9, s3
	global_load_dword v35, v15, s[2:3]
	s_load_dwordx2 s[2:3], s[4:5], 0x40
	s_waitcnt lgkmcnt(0)
	v_cmp_lt_i64_e64 s7, s[2:3], 1
	s_and_b32 vcc_lo, exec_lo, s7
	s_cbranch_vccz .LBB8_3
	s_branch .LBB8_6
.LBB8_2:
	v_mov_b32_e32 v35, 0
	s_load_dwordx2 s[2:3], s[4:5], 0x40
	s_waitcnt lgkmcnt(0)
	v_cmp_lt_i64_e64 s7, s[2:3], 1
	s_and_b32 vcc_lo, exec_lo, s7
	s_cbranch_vccnz .LBB8_6
.LBB8_3:
	s_clause 0x1
	s_load_dwordx4 s[8:11], s[4:5], 0x30
	s_load_dwordx2 s[4:5], s[4:5], 0x28
	s_ashr_i32 s7, s12, 31
	s_waitcnt lgkmcnt(0)
	s_mul_i32 s11, s13, s6
	s_mul_hi_u32 s13, s16, s12
	s_mul_i32 s7, s16, s7
	s_mul_i32 s18, s17, s12
	s_add_i32 s7, s13, s7
	s_ashr_i32 s21, s14, 2
	s_ashr_i32 s15, s11, 31
	s_add_i32 s18, s7, s18
	s_mul_i32 s14, s16, s12
	v_mul_lo_u32 v3, s21, v0
	v_ashrrev_i32_e32 v4, 31, v3
	s_mul_i32 s10, s10, s6
	s_mul_hi_u32 s23, s16, s8
	s_ashr_i32 s13, s10, 31
	s_add_u32 s6, s4, s10
	s_addc_u32 s7, s5, s13
	s_ashr_i32 s22, s8, 31
	s_mul_i32 s17, s17, s8
	s_mul_i32 s22, s16, s22
	;; [unrolled: 1-line block ×3, first 2 shown]
	s_add_i32 s22, s23, s22
	s_add_i32 s16, s22, s17
	s_add_u32 s6, s6, s8
	s_addc_u32 s7, s7, s16
	s_add_u32 s17, s0, s11
	s_addc_u32 s22, s1, s15
	;; [unrolled: 2-line block ×3, first 2 shown]
	s_ashr_i32 s12, s12, 2
	s_cmp_eq_u64 s[2:3], 1
	v_mul_lo_u32 v1, s12, v0
	v_ashrrev_i32_e32 v2, 31, v1
	v_lshlrev_b64 v[31:32], 2, v[1:2]
	v_lshlrev_b64 v[0:1], 2, v[3:4]
	v_add_co_u32 v12, vcc_lo, s17, v31
	v_add_co_ci_u32_e64 v13, null, s22, v32, vcc_lo
	v_add_co_u32 v28, vcc_lo, s19, v0
	v_add_co_ci_u32_e64 v29, null, s20, v1, vcc_lo
	global_load_dwordx4 v[0:3], v[12:13], off
	s_clause 0x1
	global_load_dwordx4 v[16:19], v[28:29], off
	global_load_dwordx4 v[20:23], v[28:29], off offset:16
	s_clause 0x1
	global_load_dwordx4 v[4:7], v[12:13], off offset:16
	global_load_dwordx4 v[8:11], v[12:13], off offset:32
	s_clause 0x1
	global_load_dwordx4 v[24:27], v[28:29], off offset:32
	global_load_dwordx3 v[28:30], v[28:29], off offset:48
	global_load_dwordx3 v[12:14], v[12:13], off offset:48
	s_waitcnt vmcnt(6)
	v_fma_f32 v33, v16, v0, 0
	v_fmac_f32_e32 v33, v17, v1
	v_fmac_f32_e32 v33, v18, v2
	v_fmac_f32_e32 v33, v19, v3
	s_waitcnt vmcnt(4)
	v_fmac_f32_e32 v33, v20, v4
	v_fmac_f32_e32 v33, v21, v5
	v_fmac_f32_e32 v33, v22, v6
	v_fmac_f32_e32 v33, v23, v7
	s_waitcnt vmcnt(2)
	v_fmac_f32_e32 v33, v24, v8
	;; [unrolled: 5-line block ×3, first 2 shown]
	v_fmac_f32_e32 v33, v29, v13
	v_fmac_f32_e32 v33, v30, v14
	v_add_f32_e32 v33, v35, v33
	v_mul_f32_e32 v34, 0xbfb8aa3b, v33
	v_cmp_nlt_f32_e32 vcc_lo, 0x42ce8ed0, v33
	v_fma_f32 v36, 0xbfb8aa3b, v33, -v34
	v_rndne_f32_e32 v37, v34
	v_fmac_f32_e32 v36, 0xb2a5705f, v33
	v_sub_f32_e32 v34, v34, v37
	v_add_f32_e32 v34, v34, v36
	v_cvt_i32_f32_e32 v36, v37
	v_exp_f32_e32 v34, v34
	v_ldexp_f32 v34, v34, v36
	v_cndmask_b32_e32 v34, 0, v34, vcc_lo
	v_cmp_ngt_f32_e32 vcc_lo, 0xc2b17218, v33
	v_cndmask_b32_e32 v34, 0x7f800000, v34, vcc_lo
	v_add_f32_e32 v34, 1.0, v34
	v_div_scale_f32 v36, null, v34, v34, v33
	v_rcp_f32_e32 v37, v36
	v_fma_f32 v38, -v36, v37, 1.0
	v_fmac_f32_e32 v37, v38, v37
	v_div_scale_f32 v38, vcc_lo, v33, v34, v33
	v_mul_f32_e32 v39, v38, v37
	v_fma_f32 v40, -v36, v39, v38
	v_fmac_f32_e32 v39, v40, v37
	v_fma_f32 v36, -v36, v39, v38
	v_div_fmas_f32 v36, v36, v37, v39
	v_div_fixup_f32 v33, v36, v34, v33
	global_store_dword v15, v33, s[6:7]
	s_cbranch_scc1 .LBB8_6
; %bb.4:
	s_ashr_i32 s6, s9, 2
                                        ; implicit-def: $vgpr46 : SGPR spill to VGPR lane
	s_mov_b64 s[20:21], 9
	s_ashr_i32 s7, s6, 31
	s_add_u32 s2, s2, -1
	s_addc_u32 s3, s3, -1
	v_writelane_b32 v46, s2, 0
	s_add_u32 s0, s0, s11
	s_addc_u32 s1, s1, s15
	s_add_u32 s0, s0, s14
	s_addc_u32 s1, s1, s18
	v_writelane_b32 v46, s3, 1
	v_add_co_u32 v31, vcc_lo, s0, v31
	v_add_co_ci_u32_e64 v32, null, s1, v32, vcc_lo
	s_lshl_b64 s[0:1], s[6:7], 2
	v_add_co_u32 v31, vcc_lo, v31, 60
	s_add_u32 s6, s8, s0
	v_writelane_b32 v46, s0, 2
	s_addc_u32 s7, s16, s1
	s_add_u32 s4, s4, s10
	s_addc_u32 s5, s5, s13
	s_add_u32 s4, s4, s6
	s_addc_u32 s5, s5, s7
	v_add_co_u32 v33, s4, s4, v15
	v_add_co_ci_u32_e64 v32, null, 0, v32, vcc_lo
	v_add_co_ci_u32_e64 v34, null, s5, 0, s4
	s_mov_b64 s[4:5], 1
	s_mov_b64 s[6:7], 0
	;; [unrolled: 1-line block ×15, first 2 shown]
	v_writelane_b32 v46, s1, 3
.LBB8_5:                                ; =>This Inner Loop Header: Depth=1
	global_load_dword v15, v[31:32], off
	s_mul_i32 s40, s5, 0x88888889
	s_mul_hi_u32 s41, s4, 0x88888889
	s_mul_hi_u32 s39, s5, 0x88888889
	s_mul_i32 s38, s4, 0x88888888
	s_add_u32 s40, s40, s41
	s_mul_hi_u32 s33, s4, 0x88888888
	s_addc_u32 s1, s39, 0
	s_add_u32 s38, s38, s40
	s_addc_u32 s33, s33, 0
	s_mul_i32 s43, s5, 0x88888888
	s_add_u32 s1, s1, s33
	s_mul_hi_u32 s42, s5, 0x88888888
	s_addc_u32 s33, 0, 0
	s_add_u32 s38, s43, s1
	s_addc_u32 s39, s42, s33
	s_mul_i32 s47, s9, 0x88888889
	s_mul_hi_u32 s48, s8, 0x88888889
	s_mul_hi_u32 s46, s9, 0x88888889
	s_lshr_b64 s[38:39], s[38:39], 3
	s_mul_i32 s45, s8, 0x88888888
	s_add_u32 s1, s47, s48
	s_mul_hi_u32 s44, s8, 0x88888888
	s_addc_u32 s40, s46, 0
	s_add_u32 s1, s45, s1
	s_addc_u32 s1, s44, 0
	s_mul_i32 s50, s9, 0x88888888
	s_add_u32 s1, s40, s1
	s_mul_hi_u32 s49, s9, 0x88888888
	s_addc_u32 s41, 0, 0
	s_add_u32 s40, s50, s1
	s_addc_u32 s41, s49, s41
	s_mul_i32 s54, s11, 0x88888889
	s_mul_hi_u32 s55, s10, 0x88888889
	s_mul_hi_u32 s53, s11, 0x88888889
	s_lshr_b64 s[40:41], s[40:41], 3
	;; [unrolled: 16-line block ×8, first 2 shown]
	s_mul_i32 vcc_hi, s22, 0x88888888
	s_add_u32 s0, s3, s0
	s_mul_hi_u32 vcc_lo, s22, 0x88888888
	s_addc_u32 s2, s2, 0
	s_add_u32 s0, vcc_hi, s0
	s_addc_u32 s0, vcc_lo, 0
	s_mul_i32 s56, s23, 0x88888888
	s_add_u32 s0, s2, s0
	s_mul_hi_u32 s57, s23, 0x88888888
	s_addc_u32 s2, 0, 0
	s_add_u32 s54, s56, s0
	s_addc_u32 s55, s57, s2
	s_mul_i32 s58, s25, 0x88888889
	s_mul_hi_u32 s59, s24, 0x88888889
	s_mul_hi_u32 s39, s25, 0x88888889
	s_lshr_b64 s[54:55], s[54:55], 3
	s_mul_i32 s33, s24, 0x88888888
	s_mul_i32 s2, s38, 15
	s_add_u32 s38, s58, s59
	s_addc_u32 s39, s39, 0
	s_add_u32 s33, s33, s38
	s_mul_hi_u32 s33, s24, 0x88888888
	s_mul_i32 s60, s25, 0x88888888
	s_addc_u32 s33, s33, 0
	s_mul_hi_u32 s1, s25, 0x88888888
	s_add_u32 s33, s39, s33
	s_addc_u32 s39, 0, 0
	s_add_u32 s38, s60, s33
	s_addc_u32 s39, s1, s39
	s_mul_i32 s64, s27, 0x88888889
	s_mul_hi_u32 s66, s26, 0x88888889
	s_mul_hi_u32 s62, s27, 0x88888889
	s_lshr_b64 s[38:39], s[38:39], 3
	s_mul_i32 s61, s26, 0x88888888
	s_add_u32 s1, s64, s66
	s_mul_hi_u32 s41, s26, 0x88888888
	s_mul_i32 s33, s38, 15
	s_addc_u32 s38, s62, 0
	s_add_u32 s1, s61, s1
	s_addc_u32 s1, s41, 0
	s_mul_i32 s65, s27, 0x88888888
	s_add_u32 s1, s38, s1
	s_mul_hi_u32 s63, s27, 0x88888888
	s_addc_u32 s39, 0, 0
	s_add_u32 s38, s65, s1
	s_addc_u32 s39, s63, s39
	s_mul_i32 s70, s29, 0x88888889
	s_mul_hi_u32 s71, s28, 0x88888889
	s_mul_hi_u32 s68, s29, 0x88888889
	s_lshr_b64 s[38:39], s[38:39], 3
	s_mul_i32 s67, s28, 0x88888888
	s_add_u32 s1, s70, s71
	s_mul_hi_u32 s43, s28, 0x88888888
	s_mul_i32 s41, s38, 15
	s_addc_u32 s38, s68, 0
	s_add_u32 s1, s67, s1
	s_addc_u32 s1, s43, 0
	s_mul_i32 s72, s29, 0x88888888
	s_add_u32 s1, s38, s1
	s_mul_hi_u32 s45, s29, 0x88888888
	;; [unrolled: 17-line block ×6, first 2 shown]
	s_addc_u32 s3, 0, 0
	s_add_u32 s38, s91, s0
	s_addc_u32 s39, s90, s3
	s_sub_i32 s0, s6, s2
	s_lshr_b64 s[38:39], s[38:39], 3
	s_mul_i32 s54, s54, 15
	s_mul_i32 s2, s38, -15
	s_mul_i32 s52, s52, 15
	s_add_i32 m0, s6, s2
	s_mul_i32 s50, s50, 15
	s_mul_i32 s48, s48, 15
	;; [unrolled: 1-line block ×6, first 2 shown]
	v_add_co_u32 v31, vcc_lo, v31, 4
	v_add_co_ci_u32_e64 v32, null, 0, v32, vcc_lo
	s_waitcnt vmcnt(0)
	v_movreld_b32_e32 v0, v15
	s_add_i32 m0, s0, 1
	s_add_u32 s4, s4, 1
	v_movrels_b32_e32 v36, v0
	s_addc_u32 s5, s5, 0
	s_sub_i32 s0, s6, s1
	s_sub_i32 s1, s6, s47
	s_add_i32 m0, s0, 2
	v_fma_f32 v36, v16, v36, 0
	v_movrels_b32_e32 v37, v0
	s_add_i32 m0, s1, 3
	s_sub_i32 s2, s6, s45
	v_movrels_b32_e32 v38, v0
	s_add_i32 m0, s2, 4
	v_fmac_f32_e32 v36, v17, v37
	v_movrels_b32_e32 v39, v0
	s_sub_i32 s3, s6, s43
	s_sub_i32 s38, s6, s41
	s_add_i32 m0, s3, 5
	v_fmac_f32_e32 v36, v18, v38
	v_movrels_b32_e32 v40, v0
	s_add_i32 m0, s38, 6
	s_sub_i32 s33, s6, s33
	v_movrels_b32_e32 v41, v0
	v_fmac_f32_e32 v36, v19, v39
	s_add_i32 m0, s33, 7
	s_sub_i32 s39, s6, s54
	v_movrels_b32_e32 v37, v0
	s_add_i32 m0, s39, 8
	v_fmac_f32_e32 v36, v20, v40
	v_movrels_b32_e32 v42, v0
	s_sub_i32 s41, s6, s52
	s_sub_i32 s43, s6, s50
	s_add_i32 m0, s41, 9
	v_fmac_f32_e32 v36, v21, v41
	v_movrels_b32_e32 v38, v0
	s_add_i32 m0, s43, 10
	s_sub_i32 s45, s6, s48
	v_movrels_b32_e32 v43, v0
	v_fmac_f32_e32 v36, v22, v37
	s_add_i32 m0, s45, 11
	s_sub_i32 s46, s6, s46
	v_movrels_b32_e32 v44, v0
	s_add_i32 m0, s46, 12
	v_fmac_f32_e32 v36, v23, v42
	v_movrels_b32_e32 v39, v0
	s_sub_i32 s44, s6, s44
	s_sub_i32 s42, s6, s42
	s_add_i32 m0, s44, 13
	v_fmac_f32_e32 v36, v24, v38
	v_movrels_b32_e32 v45, v0
	s_add_i32 m0, s42, 14
	s_sub_i32 s40, s6, s40
	v_movrels_b32_e32 v40, v0
	v_fmac_f32_e32 v36, v25, v43
	s_add_i32 m0, s40, 15
	s_add_u32 s6, s6, 1
	v_movrels_b32_e32 v15, v0
	s_addc_u32 s7, s7, 0
	v_fmac_f32_e32 v36, v26, v44
	s_add_u32 s8, s8, 1
	s_addc_u32 s9, s9, 0
	s_add_u32 s10, s10, 1
	s_addc_u32 s11, s11, 0
	v_fmac_f32_e32 v36, v27, v39
	s_add_u32 s12, s12, 1
	s_addc_u32 s13, s13, 0
	s_add_u32 s14, s14, 1
	;; [unrolled: 5-line block ×4, first 2 shown]
	s_addc_u32 s23, s23, 0
	v_fmac_f32_e32 v36, v30, v15
	v_readlane_b32 s0, v46, 2
	s_add_u32 s24, s24, 1
	s_addc_u32 s25, s25, 0
	v_readlane_b32 s1, v46, 3
	v_add_f32_e32 v15, v35, v36
	s_add_u32 s26, s26, 1
	s_addc_u32 s27, s27, 0
	s_add_u32 s28, s28, 1
	s_addc_u32 s29, s29, 0
	v_mul_f32_e32 v36, 0xbfb8aa3b, v15
	v_cmp_nlt_f32_e32 vcc_lo, 0x42ce8ed0, v15
	s_add_u32 s30, s30, 1
	s_addc_u32 s31, s31, 0
	s_add_u32 s34, s34, 1
	v_fma_f32 v37, 0xbfb8aa3b, v15, -v36
	v_rndne_f32_e32 v38, v36
	s_addc_u32 s35, s35, 0
	s_add_u32 s36, s36, 1
	s_addc_u32 s37, s37, 0
	v_fmac_f32_e32 v37, 0xb2a5705f, v15
	v_sub_f32_e32 v36, v36, v38
	v_add_f32_e32 v36, v36, v37
	v_cvt_i32_f32_e32 v37, v38
	v_exp_f32_e32 v36, v36
	v_ldexp_f32 v36, v36, v37
	v_cndmask_b32_e32 v36, 0, v36, vcc_lo
	v_cmp_ngt_f32_e32 vcc_lo, 0xc2b17218, v15
	v_cndmask_b32_e32 v36, 0x7f800000, v36, vcc_lo
	v_add_f32_e32 v36, 1.0, v36
	v_div_scale_f32 v37, null, v36, v36, v15
	v_div_scale_f32 v39, vcc_lo, v15, v36, v15
	v_rcp_f32_e32 v38, v37
	v_fma_f32 v40, -v37, v38, 1.0
	v_fmac_f32_e32 v38, v40, v38
	v_mul_f32_e32 v40, v39, v38
	v_fma_f32 v41, -v37, v40, v39
	v_fmac_f32_e32 v40, v41, v38
	v_fma_f32 v37, -v37, v40, v39
	v_div_fmas_f32 v37, v37, v38, v40
	v_div_fixup_f32 v15, v37, v36, v15
	global_store_dword v[33:34], v15, off
	v_add_co_u32 v33, vcc_lo, v33, s0
	v_add_co_ci_u32_e64 v34, null, s1, v34, vcc_lo
	v_readlane_b32 s0, v46, 0
	v_readlane_b32 s1, v46, 1
	s_cmp_eq_u64 s[0:1], s[6:7]
	s_cbranch_scc0 .LBB8_5
.LBB8_6:
	s_endpgm
	.section	.rodata,"a",@progbits
	.p2align	6, 0x0
	.amdhsa_kernel _ZL12ssm_conv_f32ILb1ELm128ELm15EEvPKfS1_S1_iiiiPfiiil
		.amdhsa_group_segment_fixed_size 0
		.amdhsa_private_segment_fixed_size 0
		.amdhsa_kernarg_size 72
		.amdhsa_user_sgpr_count 6
		.amdhsa_user_sgpr_private_segment_buffer 1
		.amdhsa_user_sgpr_dispatch_ptr 0
		.amdhsa_user_sgpr_queue_ptr 0
		.amdhsa_user_sgpr_kernarg_segment_ptr 1
		.amdhsa_user_sgpr_dispatch_id 0
		.amdhsa_user_sgpr_flat_scratch_init 0
		.amdhsa_user_sgpr_private_segment_size 0
		.amdhsa_wavefront_size32 1
		.amdhsa_uses_dynamic_stack 0
		.amdhsa_system_sgpr_private_segment_wavefront_offset 0
		.amdhsa_system_sgpr_workgroup_id_x 1
		.amdhsa_system_sgpr_workgroup_id_y 1
		.amdhsa_system_sgpr_workgroup_id_z 0
		.amdhsa_system_sgpr_workgroup_info 0
		.amdhsa_system_vgpr_workitem_id 0
		.amdhsa_next_free_vgpr 47
		.amdhsa_next_free_sgpr 105
		.amdhsa_reserve_vcc 1
		.amdhsa_reserve_flat_scratch 0
		.amdhsa_float_round_mode_32 0
		.amdhsa_float_round_mode_16_64 0
		.amdhsa_float_denorm_mode_32 3
		.amdhsa_float_denorm_mode_16_64 3
		.amdhsa_dx10_clamp 1
		.amdhsa_ieee_mode 1
		.amdhsa_fp16_overflow 0
		.amdhsa_workgroup_processor_mode 1
		.amdhsa_memory_ordered 1
		.amdhsa_forward_progress 1
		.amdhsa_shared_vgpr_count 0
		.amdhsa_exception_fp_ieee_invalid_op 0
		.amdhsa_exception_fp_denorm_src 0
		.amdhsa_exception_fp_ieee_div_zero 0
		.amdhsa_exception_fp_ieee_overflow 0
		.amdhsa_exception_fp_ieee_underflow 0
		.amdhsa_exception_fp_ieee_inexact 0
		.amdhsa_exception_int_div_zero 0
	.end_amdhsa_kernel
	.section	.text._ZL12ssm_conv_f32ILb1ELm128ELm15EEvPKfS1_S1_iiiiPfiiil,"axG",@progbits,_ZL12ssm_conv_f32ILb1ELm128ELm15EEvPKfS1_S1_iiiiPfiiil,comdat
.Lfunc_end8:
	.size	_ZL12ssm_conv_f32ILb1ELm128ELm15EEvPKfS1_S1_iiiiPfiiil, .Lfunc_end8-_ZL12ssm_conv_f32ILb1ELm128ELm15EEvPKfS1_S1_iiiiPfiiil
                                        ; -- End function
	.set _ZL12ssm_conv_f32ILb1ELm128ELm15EEvPKfS1_S1_iiiiPfiiil.num_vgpr, 47
	.set _ZL12ssm_conv_f32ILb1ELm128ELm15EEvPKfS1_S1_iiiiPfiiil.num_agpr, 0
	.set _ZL12ssm_conv_f32ILb1ELm128ELm15EEvPKfS1_S1_iiiiPfiiil.numbered_sgpr, 105
	.set _ZL12ssm_conv_f32ILb1ELm128ELm15EEvPKfS1_S1_iiiiPfiiil.num_named_barrier, 0
	.set _ZL12ssm_conv_f32ILb1ELm128ELm15EEvPKfS1_S1_iiiiPfiiil.private_seg_size, 0
	.set _ZL12ssm_conv_f32ILb1ELm128ELm15EEvPKfS1_S1_iiiiPfiiil.uses_vcc, 1
	.set _ZL12ssm_conv_f32ILb1ELm128ELm15EEvPKfS1_S1_iiiiPfiiil.uses_flat_scratch, 0
	.set _ZL12ssm_conv_f32ILb1ELm128ELm15EEvPKfS1_S1_iiiiPfiiil.has_dyn_sized_stack, 0
	.set _ZL12ssm_conv_f32ILb1ELm128ELm15EEvPKfS1_S1_iiiiPfiiil.has_recursion, 0
	.set _ZL12ssm_conv_f32ILb1ELm128ELm15EEvPKfS1_S1_iiiiPfiiil.has_indirect_call, 0
	.section	.AMDGPU.csdata,"",@progbits
; Kernel info:
; codeLenInByte = 3104
; TotalNumSgprs: 107
; NumVgprs: 47
; ScratchSize: 0
; MemoryBound: 0
; FloatMode: 240
; IeeeMode: 1
; LDSByteSize: 0 bytes/workgroup (compile time only)
; SGPRBlocks: 0
; VGPRBlocks: 5
; NumSGPRsForWavesPerEU: 107
; NumVGPRsForWavesPerEU: 47
; Occupancy: 16
; WaveLimiterHint : 0
; COMPUTE_PGM_RSRC2:SCRATCH_EN: 0
; COMPUTE_PGM_RSRC2:USER_SGPR: 6
; COMPUTE_PGM_RSRC2:TRAP_HANDLER: 0
; COMPUTE_PGM_RSRC2:TGID_X_EN: 1
; COMPUTE_PGM_RSRC2:TGID_Y_EN: 1
; COMPUTE_PGM_RSRC2:TGID_Z_EN: 0
; COMPUTE_PGM_RSRC2:TIDIG_COMP_CNT: 0
	.section	.text._ZL23ssm_conv_long_token_f32ILb1ELm128ELm15ELl32EEvPKfS1_S1_iiiiPfiiil,"axG",@progbits,_ZL23ssm_conv_long_token_f32ILb1ELm128ELm15ELl32EEvPKfS1_S1_iiiiPfiiil,comdat
	.globl	_ZL23ssm_conv_long_token_f32ILb1ELm128ELm15ELl32EEvPKfS1_S1_iiiiPfiiil ; -- Begin function _ZL23ssm_conv_long_token_f32ILb1ELm128ELm15ELl32EEvPKfS1_S1_iiiiPfiiil
	.p2align	8
	.type	_ZL23ssm_conv_long_token_f32ILb1ELm128ELm15ELl32EEvPKfS1_S1_iiiiPfiiil,@function
_ZL23ssm_conv_long_token_f32ILb1ELm128ELm15ELl32EEvPKfS1_S1_iiiiPfiiil: ; @_ZL23ssm_conv_long_token_f32ILb1ELm128ELm15ELl32EEvPKfS1_S1_iiiiPfiiil
; %bb.0:
	v_mul_u32_u24_e32 v1, 0x591, v0
	s_clause 0x1
	s_load_dwordx4 s[0:3], s[4:5], 0x18
	s_load_dwordx2 s[12:13], s[4:5], 0x0
	s_mov_b32 s10, s7
	v_lshrrev_b32_e32 v5, 16, v1
	v_mul_lo_u16 v1, v5, 46
	v_sub_nc_u16 v1, v0, v1
	v_or_b32_e32 v2, 0xffffff80, v1
	s_waitcnt lgkmcnt(0)
	s_mul_i32 s2, s2, s6
	v_and_b32_e32 v1, 0xffff, v1
	s_ashr_i32 s7, s2, 31
	s_add_u32 s2, s12, s2
	v_lshrrev_b16 v3, 1, v2
	s_addc_u32 s7, s13, s7
	s_ashr_i32 s11, s10, 31
	s_ashr_i32 s9, s1, 31
	s_lshl_b64 s[12:13], s[10:11], 7
	v_and_b32_e32 v3, 0x7f, v3
	s_lshr_b64 s[10:11], s[10:11], 25
	s_mul_i32 s9, s12, s9
	s_mul_hi_u32 s11, s12, s1
	s_mul_i32 s10, s10, s1
	v_mul_lo_u16 v3, 0xb3, v3
	s_add_i32 s9, s11, s9
	s_mul_i32 s14, s12, s1
	s_add_i32 s9, s9, s10
	s_add_u32 s2, s2, s14
	v_lshrrev_b16 v6, 12, v3
	s_addc_u32 s7, s7, s9
	s_ashr_i32 s9, s8, 31
	s_ashr_i32 s10, s0, 31
	s_lshl_b64 s[14:15], s[8:9], 5
	v_mul_lo_u16 v3, v6, 46
	s_lshr_b64 s[8:9], s[8:9], 27
	s_mul_i32 s9, s14, s10
	s_mul_hi_u32 s10, s14, s0
	s_mul_i32 s8, s8, s0
	v_sub_nc_u16 v2, v2, v3
	s_add_i32 s9, s10, s9
	s_mul_i32 s0, s14, s0
	s_add_i32 s9, s9, s8
	s_add_u32 s0, s2, s0
	v_or_b32_e32 v3, 0xffffff80, v2
	s_addc_u32 s2, s7, s9
	s_ashr_i32 s1, s1, 2
	v_add_nc_u32_sdwa v15, v5, v6 dst_sel:DWORD dst_unused:UNUSED_PAD src0_sel:DWORD src1_sel:WORD_0
	s_mov_b32 s7, exec_lo
	v_lshrrev_b16 v4, 1, v3
	v_and_b32_e32 v4, 0x7f, v4
	v_mul_lo_u16 v4, 0xb3, v4
	v_lshrrev_b16 v10, 12, v4
	v_mul_lo_u16 v4, v10, 46
	v_sub_nc_u16 v11, v3, v4
	v_or_b32_e32 v3, 0xffffff80, v11
	v_lshrrev_b16 v4, 1, v3
	v_and_b32_e32 v4, 0x7f, v4
	v_mul_lo_u16 v4, 0xb3, v4
	v_lshrrev_b16 v12, 12, v4
	v_mul_lo_u16 v4, v12, 46
	v_sub_nc_u16 v13, v3, v4
	v_or_b32_e32 v3, 0xffffff80, v13
	;; [unrolled: 7-line block ×3, first 2 shown]
	v_and_b32_e32 v22, 0xff, v17
	v_lshrrev_b16 v4, 1, v3
	v_and_b32_e32 v4, 0x7f, v4
	v_mul_lo_u16 v4, 0xb3, v4
	v_lshrrev_b16 v19, 12, v4
	v_mul_lo_u16 v4, v19, 46
	v_sub_nc_u16 v21, v3, v4
	v_or_b32_e32 v3, 0xffffff80, v21
	v_lshrrev_b16 v4, 1, v3
	v_and_b32_e32 v4, 0x7f, v4
	v_mul_lo_u16 v4, 0xb3, v4
	v_lshrrev_b16 v26, 12, v4
	v_mul_lo_u16 v4, v26, 46
	v_sub_nc_u16 v27, v3, v4
	v_or_b32_e32 v3, 0xffffff80, v27
	;; [unrolled: 7-line block ×4, first 2 shown]
	v_lshrrev_b16 v4, 1, v3
	v_and_b32_e32 v4, 0x7f, v4
	v_mul_lo_u16 v4, 0xb3, v4
	v_lshrrev_b16 v32, 12, v4
	v_mul_lo_u16 v4, v32, 46
	v_sub_nc_u16 v33, v3, v4
	v_mad_u64_u32 v[3:4], null, s1, v5, v[1:2]
	v_and_b32_e32 v2, 0xff, v2
	v_lshlrev_b32_e32 v1, 2, v1
	v_or_b32_e32 v16, 0xffffff80, v33
	v_ashrrev_i32_e32 v4, 31, v3
	v_lshrrev_b16 v7, 1, v16
	v_lshlrev_b64 v[3:4], 2, v[3:4]
	v_and_b32_e32 v8, 0x7f, v7
	v_mad_u64_u32 v[6:7], null, v15, s1, v[2:3]
	v_mul_lo_u16 v18, 0xb3, v8
	v_add_co_u32 v8, vcc_lo, s0, v3
	v_add_co_ci_u32_e64 v9, null, s2, v4, vcc_lo
	v_lshrrev_b16 v34, 12, v18
	v_ashrrev_i32_e32 v7, 31, v6
	v_and_b32_e32 v4, 0xff, v11
	v_add_nc_u32_sdwa v18, v15, v10 dst_sel:DWORD dst_unused:UNUSED_PAD src0_sel:DWORD src1_sel:WORD_0
	global_load_dword v8, v[8:9], off
	v_mul_lo_u16 v11, v34, 46
	v_lshlrev_b64 v[6:7], 2, v[6:7]
	v_and_b32_e32 v3, 0xff, v13
	v_add_nc_u32_sdwa v20, v18, v12 dst_sel:DWORD dst_unused:UNUSED_PAD src0_sel:DWORD src1_sel:WORD_0
	v_mul_u32_u24_e32 v15, 0xb8, v15
	v_sub_nc_u16 v35, v16, v11
	v_lshlrev_b32_e32 v2, 2, v2
	v_add_co_u32 v6, vcc_lo, s0, v6
	v_add_co_ci_u32_e64 v7, null, s2, v7, vcc_lo
	v_or_b32_e32 v36, 0xffffff80, v35
	v_add_nc_u32_sdwa v37, v20, v14 dst_sel:DWORD dst_unused:UNUSED_PAD src0_sel:DWORD src1_sel:WORD_0
	v_mad_u64_u32 v[11:12], null, v20, s1, v[3:4]
	global_load_dword v16, v[6:7], off
	v_mad_u64_u32 v[9:10], null, v18, s1, v[4:5]
	v_lshrrev_b16 v13, 1, v36
	v_add_nc_u32_sdwa v38, v37, v19 dst_sel:DWORD dst_unused:UNUSED_PAD src0_sel:DWORD src1_sel:WORD_0
	v_mul_u32_u24_e32 v18, 0xb8, v18
	v_ashrrev_i32_e32 v12, 31, v11
	v_lshlrev_b32_e32 v4, 2, v4
	v_add3_u32 v50, 0, v15, v2
	v_ashrrev_i32_e32 v10, 31, v9
	v_mul_u32_u24_e32 v5, 0xb8, v5
	v_lshlrev_b64 v[11:12], 2, v[11:12]
	v_add3_u32 v51, 0, v18, v4
	v_lshlrev_b32_e32 v3, 2, v3
	v_lshlrev_b64 v[6:7], 2, v[9:10]
	v_mad_u64_u32 v[9:10], null, v37, s1, v[22:23]
	v_and_b32_e32 v10, 0x7f, v13
	v_and_b32_e32 v23, 0xff, v21
	v_add3_u32 v5, 0, v5, v1
	v_add_co_u32 v6, vcc_lo, s0, v6
	v_mul_lo_u16 v13, 0xb3, v10
	v_mad_u64_u32 v[24:25], null, v38, s1, v[23:24]
	v_add_co_ci_u32_e64 v7, null, s2, v7, vcc_lo
	v_lshrrev_b16 v19, 12, v13
	v_ashrrev_i32_e32 v10, 31, v9
	v_mul_u32_u24_e32 v1, 0xb8, v20
	global_load_dword v13, v[6:7], off
	v_ashrrev_i32_e32 v25, 31, v24
	v_mul_lo_u16 v14, v19, 46
	v_lshlrev_b64 v[6:7], 2, v[9:10]
	v_add_co_u32 v9, vcc_lo, s0, v11
	v_add_co_ci_u32_e64 v10, null, s2, v12, vcc_lo
	v_sub_nc_u16 v21, v36, v14
	v_add_co_u32 v6, vcc_lo, s0, v6
	v_lshlrev_b64 v[11:12], 2, v[24:25]
	v_add_nc_u32_sdwa v36, v38, v26 dst_sel:DWORD dst_unused:UNUSED_PAD src0_sel:DWORD src1_sel:WORD_0
	v_and_b32_e32 v24, 0xff, v27
	v_add_co_ci_u32_e64 v7, null, s2, v7, vcc_lo
	v_or_b32_e32 v14, 0xffffff80, v21
	s_clause 0x1
	global_load_dword v17, v[9:10], off
	global_load_dword v10, v[6:7], off
	v_mad_u64_u32 v[6:7], null, v36, s1, v[24:25]
	v_lshrrev_b16 v7, 1, v14
	v_add_nc_u32_sdwa v39, v36, v28 dst_sel:DWORD dst_unused:UNUSED_PAD src0_sel:DWORD src1_sel:WORD_0
	v_and_b32_e32 v25, 0xff, v29
	v_and_b32_e32 v28, 0xff, v31
	v_add_co_u32 v11, vcc_lo, s0, v11
	v_and_b32_e32 v9, 0x7f, v7
	v_ashrrev_i32_e32 v7, 31, v6
	v_mad_u64_u32 v[26:27], null, v39, s1, v[25:26]
	v_add_nc_u32_sdwa v41, v39, v30 dst_sel:DWORD dst_unused:UNUSED_PAD src0_sel:DWORD src1_sel:WORD_0
	v_mul_lo_u16 v9, 0xb3, v9
	v_lshlrev_b64 v[6:7], 2, v[6:7]
	v_add_co_ci_u32_e64 v12, null, s2, v12, vcc_lo
	v_mad_u64_u32 v[29:30], null, v41, s1, v[28:29]
	v_lshrrev_b16 v40, 12, v9
	v_add_co_u32 v6, vcc_lo, s0, v6
	v_add_co_ci_u32_e64 v7, null, s2, v7, vcc_lo
	v_mul_lo_u16 v9, v40, 46
	v_ashrrev_i32_e32 v27, 31, v26
	s_clause 0x1
	global_load_dword v11, v[11:12], off
	global_load_dword v12, v[6:7], off
	v_ashrrev_i32_e32 v30, 31, v29
	v_sub_nc_u16 v42, v14, v9
	v_lshlrev_b64 v[6:7], 2, v[26:27]
	v_add_nc_u32_sdwa v43, v41, v32 dst_sel:DWORD dst_unused:UNUSED_PAD src0_sel:DWORD src1_sel:WORD_0
	v_and_b32_e32 v26, 0xff, v33
	v_lshlrev_b64 v[29:30], 2, v[29:30]
	v_or_b32_e32 v14, 0xffffff80, v42
	v_mul_lo_u32 v18, 0xb8, v36
	v_add_co_u32 v6, vcc_lo, s0, v6
	v_add_co_ci_u32_e64 v7, null, s2, v7, vcc_lo
	v_lshrrev_b16 v9, 1, v14
	v_add_nc_u32_sdwa v34, v43, v34 dst_sel:DWORD dst_unused:UNUSED_PAD src0_sel:DWORD src1_sel:WORD_0
	v_lshlrev_b32_e32 v20, 2, v23
	v_mul_u32_u24_e32 v4, 0xb8, v37
	v_add3_u32 v37, 0, v1, v3
	v_and_b32_e32 v27, 0x7f, v9
	global_load_dword v9, v[6:7], off
	v_add_co_u32 v6, vcc_lo, s0, v29
	v_add_co_ci_u32_e64 v7, null, s2, v30, vcc_lo
	v_mad_u64_u32 v[31:32], null, v43, s1, v[26:27]
	v_mul_lo_u16 v27, 0xb3, v27
	global_load_dword v7, v[6:7], off
	v_lshlrev_b32_e32 v15, 2, v22
	v_lshlrev_b32_e32 v22, 2, v24
	v_mul_lo_u32 v24, 0xb8, v43
	v_lshrrev_b16 v33, 12, v27
	v_ashrrev_i32_e32 v32, 31, v31
	v_and_b32_e32 v27, 0xff, v35
	v_add3_u32 v52, 0, v18, v22
	v_lshlrev_b32_e32 v22, 2, v28
	v_mul_lo_u16 v6, v33, 46
	v_lshlrev_b64 v[29:30], 2, v[31:32]
	v_mad_u64_u32 v[31:32], null, v34, s1, v[27:28]
	v_lshlrev_b32_e32 v18, 2, v25
	v_sub_nc_u16 v35, v14, v6
	v_lshlrev_b32_e32 v25, 2, v26
	v_add_co_u32 v29, vcc_lo, s0, v29
	v_add_co_ci_u32_e64 v30, null, s2, v30, vcc_lo
	v_or_b32_e32 v44, 0xffffff80, v35
	v_ashrrev_i32_e32 v32, 31, v31
	v_lshlrev_b32_e32 v26, 2, v27
	global_load_dword v14, v[29:30], off
	v_add3_u32 v43, 0, v24, v25
	v_lshrrev_b16 v6, 1, v44
	v_lshlrev_b64 v[29:30], 2, v[31:32]
	v_and_b32_e32 v6, 0x7f, v6
	v_add_co_u32 v29, vcc_lo, s0, v29
	v_add_co_ci_u32_e64 v30, null, s2, v30, vcc_lo
	v_mul_lo_u16 v6, 0xb3, v6
	v_lshrrev_b16 v31, 12, v6
	global_load_dword v6, v[29:30], off
	v_mul_lo_u16 v29, v31, 46
	v_sub_nc_u16 v29, v44, v29
	v_or_b32_e32 v30, 0xffffff80, v29
	v_lshrrev_b16 v32, 1, v30
	v_and_b32_e32 v32, 0x7f, v32
	v_mul_lo_u16 v32, 0xb3, v32
	v_lshrrev_b16 v32, 12, v32
	v_mul_lo_u16 v44, v32, 46
	v_sub_nc_u16 v30, v30, v44
	v_or_b32_e32 v44, 0xffffff80, v30
	v_lshrrev_b16 v45, 1, v44
	v_and_b32_e32 v45, 0x7f, v45
	v_mul_lo_u16 v45, 0xb3, v45
	v_lshrrev_b16 v45, 12, v45
	;; [unrolled: 7-line block ×4, first 2 shown]
	v_mul_lo_u16 v2, v49, 46
	v_sub_nc_u16 v36, v48, v2
	v_mul_u32_u24_e32 v2, 0xb8, v38
	v_add3_u32 v38, 0, v4, v15
	v_add_nc_u32_sdwa v15, v34, v19 dst_sel:DWORD dst_unused:UNUSED_PAD src0_sel:DWORD src1_sel:WORD_0
	v_mul_lo_u32 v19, 0xb8, v34
	v_or_b32_e32 v23, 0xffffff80, v36
	v_add3_u32 v48, 0, v2, v20
	v_mul_lo_u32 v2, 0xb8, v39
	v_mul_lo_u32 v20, 0xb8, v41
	v_lshrrev_b16 v1, 1, v23
	s_waitcnt vmcnt(10)
	ds_write_b32 v5, v8
	v_add_nc_u32_sdwa v8, v15, v40 dst_sel:DWORD dst_unused:UNUSED_PAD src0_sel:DWORD src1_sel:WORD_0
	v_add3_u32 v53, 0, v19, v26
	v_and_b32_e32 v3, 0x7f, v1
	v_and_b32_e32 v1, 0xff, v21
	v_add3_u32 v41, 0, v20, v22
	v_add3_u32 v34, 0, v2, v18
	v_mul_lo_u16 v21, 0xb3, v3
	v_mad_u64_u32 v[3:4], null, v15, s1, v[1:2]
	v_and_b32_e32 v2, 0xff, v42
	v_lshlrev_b32_e32 v1, 2, v1
	v_lshrrev_b16 v39, 12, v21
	s_waitcnt vmcnt(9)
	ds_write_b32 v50, v16
	v_add_nc_u32_sdwa v16, v8, v33 dst_sel:DWORD dst_unused:UNUSED_PAD src0_sel:DWORD src1_sel:WORD_0
	v_ashrrev_i32_e32 v4, 31, v3
	v_mul_lo_u16 v5, v39, 46
	v_add_nc_u32_sdwa v18, v16, v31 dst_sel:DWORD dst_unused:UNUSED_PAD src0_sel:DWORD src1_sel:WORD_0
	v_lshlrev_b64 v[3:4], 2, v[3:4]
	v_sub_nc_u16 v40, v23, v5
	v_and_b32_e32 v5, 0xff, v35
	v_or_b32_e32 v33, 0xffffff80, v40
	v_add_co_u32 v21, vcc_lo, s0, v3
	v_add_co_ci_u32_e64 v22, null, s2, v4, vcc_lo
	v_lshrrev_b16 v4, 1, v33
	v_mad_u64_u32 v[19:20], null, v8, s1, v[2:3]
	v_and_b32_e32 v3, 0xff, v29
	v_lshlrev_b32_e32 v2, 2, v2
	v_and_b32_e32 v4, 0x7f, v4
	v_ashrrev_i32_e32 v20, 31, v19
	v_mad_u64_u32 v[25:26], null, v18, s1, v[3:4]
	s_waitcnt vmcnt(8)
	ds_write_b32 v51, v13
	v_add_nc_u32_sdwa v13, v18, v32 dst_sel:DWORD dst_unused:UNUSED_PAD src0_sel:DWORD src1_sel:WORD_0
	v_lshlrev_b64 v[19:20], 2, v[19:20]
	v_lshlrev_b32_e32 v3, 2, v3
	v_ashrrev_i32_e32 v26, 31, v25
	v_add_nc_u32_sdwa v45, v13, v45 dst_sel:DWORD dst_unused:UNUSED_PAD src0_sel:DWORD src1_sel:WORD_0
	v_add_co_u32 v19, vcc_lo, s0, v19
	v_add_co_ci_u32_e64 v20, null, s2, v20, vcc_lo
	v_lshlrev_b64 v[25:26], 2, v[25:26]
	s_waitcnt vmcnt(7)
	ds_write_b32 v37, v17
	s_waitcnt vmcnt(6)
	ds_write_b32 v38, v10
	v_and_b32_e32 v17, 0xff, v44
	v_add_nc_u32_sdwa v44, v45, v47 dst_sel:DWORD dst_unused:UNUSED_PAD src0_sel:DWORD src1_sel:WORD_0
	v_add_nc_u32_sdwa v49, v44, v49 dst_sel:DWORD dst_unused:UNUSED_PAD src0_sel:DWORD src1_sel:WORD_0
	s_waitcnt vmcnt(5)
	ds_write_b32 v48, v11
	s_waitcnt vmcnt(0)
	v_mad_u64_u32 v[23:24], null, v16, s1, v[5:6]
	v_mul_lo_u16 v24, 0xb3, v4
	v_and_b32_e32 v4, 0xff, v30
	v_lshrrev_b16 v32, 12, v24
	v_mad_u64_u32 v[27:28], null, v13, s1, v[4:5]
	v_ashrrev_i32_e32 v24, 31, v23
	v_lshlrev_b32_e32 v5, 2, v5
	v_mul_lo_u16 v28, v32, 46
	v_lshlrev_b64 v[23:24], 2, v[23:24]
	v_sub_nc_u16 v33, v33, v28
	v_ashrrev_i32_e32 v28, 31, v27
	v_add_co_u32 v23, vcc_lo, s0, v23
	v_or_b32_e32 v35, 0xffffff80, v33
	v_lshlrev_b64 v[27:28], 2, v[27:28]
	v_add_co_ci_u32_e64 v24, null, s2, v24, vcc_lo
	v_add_co_u32 v25, vcc_lo, s0, v25
	v_lshrrev_b16 v10, 1, v35
	v_add_co_ci_u32_e64 v26, null, s2, v26, vcc_lo
	v_and_b32_e32 v29, 0x7f, v10
	v_add_co_u32 v10, vcc_lo, s0, v27
	v_add_co_ci_u32_e64 v11, null, s2, v28, vcc_lo
	v_mul_lo_u16 v37, 0xb3, v29
	v_mad_u64_u32 v[28:29], null, v45, s1, v[17:18]
	v_and_b32_e32 v27, 0xff, v46
	s_clause 0x4
	global_load_dword v46, v[21:22], off
	global_load_dword v47, v[19:20], off
	;; [unrolled: 1-line block ×5, first 2 shown]
	v_lshrrev_b16 v37, 12, v37
	ds_write_b32 v52, v12
	ds_write_b32 v34, v9
	v_add_nc_u32_sdwa v52, v49, v39 dst_sel:DWORD dst_unused:UNUSED_PAD src0_sel:DWORD src1_sel:WORD_0
	v_ashrrev_i32_e32 v29, 31, v28
	v_mul_lo_u16 v11, v37, 46
	v_mad_u64_u32 v[30:31], null, v44, s1, v[27:28]
	ds_write_b32 v41, v7
	v_add_nc_u32_sdwa v54, v52, v32 dst_sel:DWORD dst_unused:UNUSED_PAD src0_sel:DWORD src1_sel:WORD_0
	v_sub_nc_u16 v35, v35, v11
	v_lshlrev_b64 v[11:12], 2, v[28:29]
	v_and_b32_e32 v7, 0xff, v33
	ds_write_b32 v43, v14
	v_ashrrev_i32_e32 v31, 31, v30
	v_or_b32_e32 v28, 0xffffff80, v35
	ds_write_b32 v53, v6
	v_add_nc_u32_sdwa v55, v54, v37 dst_sel:DWORD dst_unused:UNUSED_PAD src0_sel:DWORD src1_sel:WORD_0
	v_and_b32_e32 v14, 0xff, v35
	v_lshlrev_b64 v[19:20], 2, v[30:31]
	v_lshrrev_b16 v9, 1, v28
	v_and_b32_e32 v10, 0xff, v36
	v_and_b32_e32 v23, 0x7f, v9
	;; [unrolled: 1-line block ×3, first 2 shown]
	v_mad_u64_u32 v[21:22], null, v49, s1, v[10:11]
	v_add_co_u32 v11, vcc_lo, s0, v11
	v_mul_lo_u16 v25, 0xb3, v23
	v_mad_u64_u32 v[23:24], null, v52, s1, v[9:10]
	v_add_co_ci_u32_e64 v12, null, s2, v12, vcc_lo
	v_lshrrev_b16 v30, 12, v25
	v_mad_u64_u32 v[25:26], null, v54, s1, v[7:8]
	v_ashrrev_i32_e32 v22, 31, v21
	v_ashrrev_i32_e32 v24, 31, v23
	v_mul_lo_u16 v26, v30, 46
	v_add_nc_u32_sdwa v56, v55, v30 dst_sel:DWORD dst_unused:UNUSED_PAD src0_sel:DWORD src1_sel:WORD_0
	v_add_co_u32 v19, vcc_lo, s0, v19
	v_lshlrev_b64 v[21:22], 2, v[21:22]
	v_sub_nc_u16 v31, v28, v26
	v_mad_u64_u32 v[28:29], null, v55, s1, v[14:15]
	v_ashrrev_i32_e32 v26, 31, v25
	v_lshlrev_b64 v[23:24], 2, v[23:24]
	v_or_b32_e32 v33, 0xffffff80, v31
	v_and_b32_e32 v30, 0xff, v31
	v_add_co_ci_u32_e64 v20, null, s2, v20, vcc_lo
	v_ashrrev_i32_e32 v29, 31, v28
	v_lshrrev_b16 v32, 1, v33
	v_lshlrev_b64 v[25:26], 2, v[25:26]
	v_add_co_u32 v21, vcc_lo, s0, v21
	v_lshlrev_b64 v[28:29], 2, v[28:29]
	v_and_b32_e32 v34, 0x7f, v32
	v_mad_u64_u32 v[31:32], null, v56, s1, v[30:31]
	v_add_co_ci_u32_e64 v22, null, s2, v22, vcc_lo
	v_mul_lo_u16 v6, 0xb3, v34
	v_add_co_u32 v23, vcc_lo, s0, v23
	v_add_co_ci_u32_e64 v24, null, s2, v24, vcc_lo
	v_lshrrev_b16 v6, 12, v6
	v_ashrrev_i32_e32 v32, 31, v31
	v_add_co_u32 v25, vcc_lo, s0, v25
	v_add_co_ci_u32_e64 v26, null, s2, v26, vcc_lo
	v_mul_lo_u16 v34, v6, 46
	v_add_nc_u32_sdwa v53, v56, v6 dst_sel:DWORD dst_unused:UNUSED_PAD src0_sel:DWORD src1_sel:WORD_0
	v_lshlrev_b64 v[31:32], 2, v[31:32]
	v_add_co_u32 v28, vcc_lo, s0, v28
	v_sub_nc_u16 v35, v33, v34
	v_add_co_ci_u32_e64 v29, null, s2, v29, vcc_lo
	v_add_co_u32 v31, vcc_lo, s0, v31
	v_and_b32_e32 v6, 0xff, v35
	v_or_b32_e32 v35, 0xffffff80, v35
	v_add_co_ci_u32_e64 v32, null, s2, v32, vcc_lo
	v_mul_lo_u32 v8, 0xb8, v8
	v_mad_u64_u32 v[33:34], null, v53, s1, v[6:7]
	v_lshrrev_b16 v36, 1, v35
	v_mul_lo_u32 v15, 0xb8, v15
	v_lshlrev_b32_e32 v7, 2, v7
	v_lshlrev_b32_e32 v6, 2, v6
	v_and_b32_e32 v36, 0x7f, v36
	v_ashrrev_i32_e32 v34, 31, v33
	v_add3_u32 v2, 0, v8, v2
	v_mul_lo_u32 v8, 0xb8, v16
	v_add3_u32 v1, 0, v15, v1
	v_mul_lo_u16 v36, 0xb3, v36
	v_lshlrev_b64 v[33:34], 2, v[33:34]
	v_mul_lo_u32 v15, 0xb8, v49
	v_lshrrev_b16 v36, 12, v36
	v_add3_u32 v5, 0, v8, v5
	v_add_co_u32 v33, vcc_lo, s0, v33
	v_add_co_ci_u32_e64 v34, null, s2, v34, vcc_lo
	v_mul_lo_u16 v37, v36, 46
	v_add_nc_u32_sdwa v57, v53, v36 dst_sel:DWORD dst_unused:UNUSED_PAD src0_sel:DWORD src1_sel:WORD_0
	v_mul_lo_u32 v8, 0xb8, v18
	v_sub_nc_u16 v38, v35, v37
	v_and_b32_e32 v35, 0xff, v38
	v_or_b32_e32 v38, 0xffffff80, v38
	v_mad_u64_u32 v[36:37], null, v57, s1, v[35:36]
	v_lshrrev_b16 v39, 1, v38
	v_and_b32_e32 v39, 0x7f, v39
	v_ashrrev_i32_e32 v37, 31, v36
	v_mul_lo_u16 v39, 0xb3, v39
	v_lshlrev_b64 v[36:37], 2, v[36:37]
	v_lshrrev_b16 v39, 12, v39
	v_add_co_u32 v36, vcc_lo, s0, v36
	v_add_co_ci_u32_e64 v37, null, s2, v37, vcc_lo
	v_mul_lo_u16 v40, v39, 46
	v_add_nc_u32_sdwa v58, v57, v39 dst_sel:DWORD dst_unused:UNUSED_PAD src0_sel:DWORD src1_sel:WORD_0
	v_sub_nc_u16 v41, v38, v40
	v_and_b32_e32 v38, 0xff, v41
	v_or_b32_e32 v41, 0xffffff80, v41
	v_mad_u64_u32 v[39:40], null, v58, s1, v[38:39]
	v_lshrrev_b16 v42, 1, v41
	v_and_b32_e32 v42, 0x7f, v42
	v_ashrrev_i32_e32 v40, 31, v39
	v_mul_lo_u16 v42, 0xb3, v42
	v_lshlrev_b64 v[39:40], 2, v[39:40]
	v_lshrrev_b16 v42, 12, v42
	v_add_co_u32 v39, vcc_lo, s0, v39
	v_add_co_ci_u32_e64 v40, null, s2, v40, vcc_lo
	v_mul_lo_u16 v43, v42, 46
	v_add_nc_u32_sdwa v60, v58, v42 dst_sel:DWORD dst_unused:UNUSED_PAD src0_sel:DWORD src1_sel:WORD_0
	v_sub_nc_u16 v59, v41, v43
	v_and_b32_e32 v41, 0xff, v59
	v_mad_u64_u32 v[42:43], null, v60, s1, v[41:42]
	v_ashrrev_i32_e32 v43, 31, v42
	v_lshlrev_b64 v[42:43], 2, v[42:43]
	v_add_co_u32 v42, vcc_lo, s0, v42
	v_add_co_ci_u32_e64 v43, null, s2, v43, vcc_lo
	s_clause 0xa
	global_load_dword v11, v[11:12], off
	global_load_dword v12, v[19:20], off
	;; [unrolled: 1-line block ×11, first 2 shown]
	s_waitcnt vmcnt(15)
	ds_write_b32 v1, v46
	s_waitcnt vmcnt(14)
	ds_write_b32 v2, v47
	;; [unrolled: 2-line block ×3, first 2 shown]
	v_add3_u32 v1, 0, v8, v3
	v_mul_lo_u32 v2, 0xb8, v13
	v_lshlrev_b32_e32 v3, 2, v4
	v_mul_lo_u32 v4, 0xb8, v45
	v_mul_lo_u32 v5, 0xb8, v44
	v_lshlrev_b32_e32 v8, 2, v17
	v_lshlrev_b32_e32 v13, 2, v27
	s_waitcnt vmcnt(12)
	ds_write_b32 v1, v50
	v_add3_u32 v1, 0, v2, v3
	v_lshlrev_b32_e32 v2, 2, v10
	v_add3_u32 v3, 0, v4, v8
	v_add3_u32 v4, 0, v5, v13
	v_mul_lo_u32 v5, 0xb8, v52
	s_waitcnt vmcnt(11)
	ds_write_b32 v1, v51
	v_add3_u32 v1, 0, v15, v2
	v_lshlrev_b32_e32 v2, 2, v9
	v_mul_lo_u32 v9, 0xb8, v56
	v_lshlrev_b32_e32 v8, 2, v14
	v_lshlrev_b32_e32 v10, 2, v41
	s_waitcnt vmcnt(10)
	ds_write_b32 v3, v11
	s_waitcnt vmcnt(9)
	ds_write_b32 v4, v12
	v_or_b32_e32 v3, 0xffffff80, v59
	s_waitcnt vmcnt(8)
	ds_write_b32 v1, v19
	v_add3_u32 v1, 0, v5, v2
	v_mul_lo_u32 v2, 0xb8, v54
	v_mul_lo_u32 v4, 0xb8, v55
	v_lshrrev_b16 v5, 1, v3
	s_waitcnt vmcnt(7)
	ds_write_b32 v1, v20
	v_and_b32_e32 v1, 0x7f, v5
	v_lshlrev_b32_e32 v5, 2, v30
	v_add3_u32 v2, 0, v2, v7
	v_add3_u32 v4, 0, v4, v8
	v_mul_lo_u32 v7, 0xb8, v53
	v_mul_lo_u16 v1, 0xb3, v1
	v_add3_u32 v5, 0, v9, v5
	s_waitcnt vmcnt(6)
	ds_write_b32 v2, v21
	s_waitcnt vmcnt(5)
	ds_write_b32 v4, v22
	v_lshlrev_b32_e32 v8, 2, v35
	v_lshlrev_b32_e32 v9, 2, v38
	v_lshrrev_b16 v1, 12, v1
	s_waitcnt vmcnt(4)
	ds_write_b32 v5, v23
	v_mul_lo_u32 v5, 0xb8, v57
	v_add3_u32 v4, 0, v7, v6
	v_mul_lo_u32 v6, 0xb8, v58
	v_mul_lo_u16 v2, v1, 46
	v_mul_lo_u32 v7, 0xb8, v60
	v_sub_nc_u16 v3, v3, v2
	v_add_nc_u32_sdwa v2, v60, v1 dst_sel:DWORD dst_unused:UNUSED_PAD src0_sel:DWORD src1_sel:WORD_0
	v_add3_u32 v5, 0, v5, v8
	v_add3_u32 v6, 0, v6, v9
	;; [unrolled: 1-line block ×3, first 2 shown]
	v_and_b32_e32 v1, 0xff, v3
	s_waitcnt vmcnt(3)
	ds_write_b32 v4, v24
	s_waitcnt vmcnt(2)
	ds_write_b32 v5, v25
	;; [unrolled: 2-line block ×4, first 2 shown]
	v_cmpx_gt_u32_e32 0x80, v2
	s_cbranch_execz .LBB9_2
; %bb.1:
	v_mad_u64_u32 v[3:4], null, v2, s1, v[1:2]
	v_lshlrev_b32_e32 v5, 2, v1
	v_ashrrev_i32_e32 v4, 31, v3
	v_lshlrev_b64 v[3:4], 2, v[3:4]
	v_add_co_u32 v3, vcc_lo, s0, v3
	v_add_co_ci_u32_e64 v4, null, s2, v4, vcc_lo
	global_load_dword v3, v[3:4], off
	v_mul_lo_u32 v4, 0xb8, v2
	v_add3_u32 v4, 0, v4, v5
	s_waitcnt vmcnt(0)
	ds_write_b32 v4, v3
.LBB9_2:
	s_or_b32 exec_lo, exec_lo, s7
	v_or_b32_e32 v1, 0xffffff80, v1
	s_mov_b32 s7, exec_lo
	v_lshrrev_b16 v3, 1, v1
	v_and_b32_e32 v3, 0x7f, v3
	v_mul_lo_u16 v3, 0xb3, v3
	v_lshrrev_b16 v3, 12, v3
	v_mul_lo_u16 v4, v3, 46
	v_add_nc_u32_sdwa v2, v2, v3 dst_sel:DWORD dst_unused:UNUSED_PAD src0_sel:DWORD src1_sel:WORD_0
	v_sub_nc_u16 v1, v1, v4
	v_and_b32_e32 v1, 0xff, v1
	v_cmpx_gt_u32_e32 0x80, v2
	s_cbranch_execz .LBB9_4
; %bb.3:
	v_mad_u64_u32 v[3:4], null, v2, s1, v[1:2]
	v_lshlrev_b32_e32 v5, 2, v1
	v_ashrrev_i32_e32 v4, 31, v3
	v_lshlrev_b64 v[3:4], 2, v[3:4]
	v_add_co_u32 v3, vcc_lo, s0, v3
	v_add_co_ci_u32_e64 v4, null, s2, v4, vcc_lo
	global_load_dword v3, v[3:4], off
	v_mul_lo_u32 v4, 0xb8, v2
	v_add3_u32 v4, 0, v4, v5
	s_waitcnt vmcnt(0)
	ds_write_b32 v4, v3
.LBB9_4:
	s_or_b32 exec_lo, exec_lo, s7
	v_or_b32_e32 v1, 0xffffff80, v1
	s_mov_b32 s7, exec_lo
	v_lshrrev_b16 v3, 1, v1
	v_and_b32_e32 v3, 0x7f, v3
	v_mul_lo_u16 v3, 0xb3, v3
	v_lshrrev_b16 v3, 12, v3
	v_mul_lo_u16 v4, v3, 46
	v_add_nc_u32_sdwa v2, v2, v3 dst_sel:DWORD dst_unused:UNUSED_PAD src0_sel:DWORD src1_sel:WORD_0
	v_sub_nc_u16 v1, v1, v4
	v_and_b32_e32 v1, 0xff, v1
	;; [unrolled: 26-line block ×11, first 2 shown]
	v_cmpx_gt_u32_e32 0x80, v2
	s_cbranch_execz .LBB9_24
; %bb.23:
	v_mad_u64_u32 v[3:4], null, v2, s1, v[1:2]
	v_lshlrev_b32_e32 v5, 2, v1
	v_ashrrev_i32_e32 v4, 31, v3
	v_lshlrev_b64 v[3:4], 2, v[3:4]
	v_add_co_u32 v3, vcc_lo, s0, v3
	v_add_co_ci_u32_e64 v4, null, s2, v4, vcc_lo
	global_load_dword v3, v[3:4], off
	v_mul_lo_u32 v4, 0xb8, v2
	v_add3_u32 v4, 0, v4, v5
	s_waitcnt vmcnt(0)
	ds_write_b32 v4, v3
.LBB9_24:
	s_or_b32 exec_lo, exec_lo, s7
	s_clause 0x1
	s_load_dwordx4 s[8:11], s[4:5], 0x8
	s_load_dwordx2 s[16:17], s[4:5], 0x28
	s_mov_b32 s7, exec_lo
	v_cmpx_gt_u32_e32 0x380, v0
	s_cbranch_execz .LBB9_45
; %bb.25:
	v_or_b32_e32 v1, 0xffffff80, v1
	s_mov_b32 s18, exec_lo
	v_lshrrev_b16 v3, 1, v1
	v_and_b32_e32 v3, 0x7f, v3
	v_mul_lo_u16 v3, 0xb3, v3
	v_lshrrev_b16 v3, 12, v3
	v_mul_lo_u16 v4, v3, 46
	v_add_nc_u32_sdwa v2, v2, v3 dst_sel:DWORD dst_unused:UNUSED_PAD src0_sel:DWORD src1_sel:WORD_0
	v_sub_nc_u16 v1, v1, v4
	v_and_b32_e32 v1, 0xff, v1
	v_cmpx_gt_u32_e32 0x80, v2
	s_cbranch_execz .LBB9_27
; %bb.26:
	v_mad_u64_u32 v[3:4], null, v2, s1, v[1:2]
	v_lshlrev_b32_e32 v5, 2, v1
	v_ashrrev_i32_e32 v4, 31, v3
	v_lshlrev_b64 v[3:4], 2, v[3:4]
	v_add_co_u32 v3, vcc_lo, s0, v3
	v_add_co_ci_u32_e64 v4, null, s2, v4, vcc_lo
	global_load_dword v3, v[3:4], off
	v_mul_lo_u32 v4, 0xb8, v2
	v_add3_u32 v4, 0, v4, v5
	s_waitcnt vmcnt(0)
	ds_write_b32 v4, v3
.LBB9_27:
	s_or_b32 exec_lo, exec_lo, s18
	v_cmp_gt_u32_e32 vcc_lo, 0x300, v0
	s_and_b32 exec_lo, exec_lo, vcc_lo
	s_cbranch_execz .LBB9_45
; %bb.28:
	v_or_b32_e32 v1, 0xffffff80, v1
	s_mov_b32 s18, exec_lo
	v_lshrrev_b16 v3, 1, v1
	v_and_b32_e32 v3, 0x7f, v3
	v_mul_lo_u16 v3, 0xb3, v3
	v_lshrrev_b16 v3, 12, v3
	v_mul_lo_u16 v4, v3, 46
	v_add_nc_u32_sdwa v2, v2, v3 dst_sel:DWORD dst_unused:UNUSED_PAD src0_sel:DWORD src1_sel:WORD_0
	v_sub_nc_u16 v1, v1, v4
	v_and_b32_e32 v1, 0xff, v1
	v_cmpx_gt_u32_e32 0x80, v2
	s_cbranch_execz .LBB9_30
; %bb.29:
	v_mad_u64_u32 v[3:4], null, v2, s1, v[1:2]
	v_lshlrev_b32_e32 v5, 2, v1
	v_ashrrev_i32_e32 v4, 31, v3
	v_lshlrev_b64 v[3:4], 2, v[3:4]
	v_add_co_u32 v3, vcc_lo, s0, v3
	v_add_co_ci_u32_e64 v4, null, s2, v4, vcc_lo
	global_load_dword v3, v[3:4], off
	v_mul_lo_u32 v4, 0xb8, v2
	v_add3_u32 v4, 0, v4, v5
	s_waitcnt vmcnt(0)
	ds_write_b32 v4, v3
.LBB9_30:
	s_or_b32 exec_lo, exec_lo, s18
	v_cmp_gt_u32_e32 vcc_lo, 0x280, v0
	s_and_b32 exec_lo, exec_lo, vcc_lo
	s_cbranch_execz .LBB9_45
; %bb.31:
	v_or_b32_e32 v1, 0xffffff80, v1
	s_mov_b32 s18, exec_lo
	v_lshrrev_b16 v3, 1, v1
	v_and_b32_e32 v3, 0x7f, v3
	v_mul_lo_u16 v3, 0xb3, v3
	v_lshrrev_b16 v3, 12, v3
	v_mul_lo_u16 v4, v3, 46
	v_add_nc_u32_sdwa v2, v2, v3 dst_sel:DWORD dst_unused:UNUSED_PAD src0_sel:DWORD src1_sel:WORD_0
	v_sub_nc_u16 v1, v1, v4
	v_and_b32_e32 v1, 0xff, v1
	v_cmpx_gt_u32_e32 0x80, v2
	s_cbranch_execz .LBB9_33
; %bb.32:
	v_mad_u64_u32 v[3:4], null, v2, s1, v[1:2]
	v_lshlrev_b32_e32 v5, 2, v1
	v_ashrrev_i32_e32 v4, 31, v3
	v_lshlrev_b64 v[3:4], 2, v[3:4]
	v_add_co_u32 v3, vcc_lo, s0, v3
	v_add_co_ci_u32_e64 v4, null, s2, v4, vcc_lo
	global_load_dword v3, v[3:4], off
	v_mul_lo_u32 v4, 0xb8, v2
	v_add3_u32 v4, 0, v4, v5
	s_waitcnt vmcnt(0)
	ds_write_b32 v4, v3
.LBB9_33:
	s_or_b32 exec_lo, exec_lo, s18
	v_cmp_gt_u32_e32 vcc_lo, 0x200, v0
	s_and_b32 exec_lo, exec_lo, vcc_lo
	s_cbranch_execz .LBB9_45
; %bb.34:
	v_or_b32_e32 v1, 0xffffff80, v1
	s_mov_b32 s18, exec_lo
	v_lshrrev_b16 v3, 1, v1
	v_and_b32_e32 v3, 0x7f, v3
	v_mul_lo_u16 v3, 0xb3, v3
	v_lshrrev_b16 v3, 12, v3
	v_mul_lo_u16 v4, v3, 46
	v_add_nc_u32_sdwa v2, v2, v3 dst_sel:DWORD dst_unused:UNUSED_PAD src0_sel:DWORD src1_sel:WORD_0
	v_sub_nc_u16 v1, v1, v4
	v_and_b32_e32 v1, 0xff, v1
	v_cmpx_gt_u32_e32 0x80, v2
	s_cbranch_execz .LBB9_36
; %bb.35:
	v_mad_u64_u32 v[3:4], null, v2, s1, v[1:2]
	v_lshlrev_b32_e32 v5, 2, v1
	v_ashrrev_i32_e32 v4, 31, v3
	v_lshlrev_b64 v[3:4], 2, v[3:4]
	v_add_co_u32 v3, vcc_lo, s0, v3
	v_add_co_ci_u32_e64 v4, null, s2, v4, vcc_lo
	global_load_dword v3, v[3:4], off
	v_mul_lo_u32 v4, 0xb8, v2
	v_add3_u32 v4, 0, v4, v5
	s_waitcnt vmcnt(0)
	ds_write_b32 v4, v3
.LBB9_36:
	s_or_b32 exec_lo, exec_lo, s18
	v_cmp_gt_u32_e32 vcc_lo, 0x180, v0
	s_and_b32 exec_lo, exec_lo, vcc_lo
	s_cbranch_execz .LBB9_45
; %bb.37:
	v_or_b32_e32 v1, 0xffffff80, v1
	s_mov_b32 s18, exec_lo
	v_lshrrev_b16 v3, 1, v1
	v_and_b32_e32 v3, 0x7f, v3
	v_mul_lo_u16 v3, 0xb3, v3
	v_lshrrev_b16 v3, 12, v3
	v_mul_lo_u16 v4, v3, 46
	v_add_nc_u32_sdwa v2, v2, v3 dst_sel:DWORD dst_unused:UNUSED_PAD src0_sel:DWORD src1_sel:WORD_0
	v_sub_nc_u16 v1, v1, v4
	v_and_b32_e32 v1, 0xff, v1
	v_cmpx_gt_u32_e32 0x80, v2
	s_cbranch_execz .LBB9_39
; %bb.38:
	v_mad_u64_u32 v[3:4], null, v2, s1, v[1:2]
	v_lshlrev_b32_e32 v5, 2, v1
	v_ashrrev_i32_e32 v4, 31, v3
	v_lshlrev_b64 v[3:4], 2, v[3:4]
	v_add_co_u32 v3, vcc_lo, s0, v3
	v_add_co_ci_u32_e64 v4, null, s2, v4, vcc_lo
	global_load_dword v3, v[3:4], off
	v_mul_lo_u32 v4, 0xb8, v2
	v_add3_u32 v4, 0, v4, v5
	s_waitcnt vmcnt(0)
	ds_write_b32 v4, v3
.LBB9_39:
	s_or_b32 exec_lo, exec_lo, s18
	v_cmp_gt_u32_e32 vcc_lo, 0x100, v0
	s_and_b32 exec_lo, exec_lo, vcc_lo
	s_cbranch_execz .LBB9_45
; %bb.40:
	v_or_b32_e32 v1, 0xffffff80, v1
	s_mov_b32 s18, exec_lo
	v_lshrrev_b16 v3, 1, v1
	v_and_b32_e32 v3, 0x7f, v3
	v_mul_lo_u16 v3, 0xb3, v3
	v_lshrrev_b16 v3, 12, v3
	v_mul_lo_u16 v4, v3, 46
	v_add_nc_u32_sdwa v2, v2, v3 dst_sel:DWORD dst_unused:UNUSED_PAD src0_sel:DWORD src1_sel:WORD_0
	v_sub_nc_u16 v1, v1, v4
	v_and_b32_e32 v1, 0xff, v1
	v_cmpx_gt_u32_e32 0x80, v2
	s_cbranch_execz .LBB9_42
; %bb.41:
	v_mad_u64_u32 v[3:4], null, v2, s1, v[1:2]
	v_lshlrev_b32_e32 v5, 2, v1
	v_ashrrev_i32_e32 v4, 31, v3
	v_lshlrev_b64 v[3:4], 2, v[3:4]
	v_add_co_u32 v3, vcc_lo, s0, v3
	v_add_co_ci_u32_e64 v4, null, s2, v4, vcc_lo
	global_load_dword v3, v[3:4], off
	v_mul_lo_u32 v4, 0xb8, v2
	v_add3_u32 v4, 0, v4, v5
	s_waitcnt vmcnt(0)
	ds_write_b32 v4, v3
.LBB9_42:
	s_or_b32 exec_lo, exec_lo, s18
	v_cmp_gt_u32_e32 vcc_lo, 0x80, v0
	s_and_b32 exec_lo, exec_lo, vcc_lo
	s_cbranch_execz .LBB9_45
; %bb.43:
	v_or_b32_e32 v3, 0x80, v1
	v_lshrrev_b16 v1, 1, v3
	v_mul_lo_u16 v1, 0xb3, v1
	v_lshrrev_b16 v4, 12, v1
	v_add_nc_u32_sdwa v1, v2, v4 dst_sel:DWORD dst_unused:UNUSED_PAD src0_sel:DWORD src1_sel:WORD_0
	v_cmp_gt_u32_e32 vcc_lo, 0x80, v1
	s_and_b32 exec_lo, exec_lo, vcc_lo
	s_cbranch_execz .LBB9_45
; %bb.44:
	v_mul_lo_u16 v2, v4, 46
	v_sub_nc_u16 v2, v3, v2
	v_and_b32_e32 v2, 0xff, v2
	v_mad_u64_u32 v[3:4], null, v1, s1, v[2:3]
	v_mul_lo_u32 v1, 0xb8, v1
	v_lshlrev_b32_e32 v2, 2, v2
	v_ashrrev_i32_e32 v4, 31, v3
	v_add3_u32 v1, 0, v1, v2
	v_lshlrev_b64 v[3:4], 2, v[3:4]
	v_add_co_u32 v3, vcc_lo, s0, v3
	v_add_co_ci_u32_e64 v4, null, s2, v4, vcc_lo
	global_load_dword v3, v[3:4], off
	s_waitcnt vmcnt(0)
	ds_write_b32 v1, v3
.LBB9_45:
	s_or_b32 exec_lo, exec_lo, s7
	s_ashr_i32 s0, s3, 31
	s_mul_hi_u32 s1, s12, s3
	s_mul_i32 s0, s12, s0
	s_mul_i32 s2, s13, s3
	s_add_i32 s0, s1, s0
	s_mul_i32 s1, s12, s3
	s_add_i32 s0, s0, s2
	s_waitcnt lgkmcnt(0)
	s_add_u32 s1, s8, s1
	s_addc_u32 s0, s9, s0
	s_ashr_i32 s2, s3, 2
	v_mul_lo_u32 v1, s2, v0
	s_barrier
	buffer_gl0_inv
	v_lshlrev_b32_e32 v17, 2, v0
	s_cmp_eq_u64 s[10:11], 0
	v_ashrrev_i32_e32 v2, 31, v1
	v_lshlrev_b64 v[1:2], 2, v[1:2]
	v_add_co_u32 v9, vcc_lo, s1, v1
	v_add_co_ci_u32_e64 v10, null, s0, v2, vcc_lo
	s_clause 0x3
	global_load_dwordx3 v[13:15], v[9:10], off offset:48
	global_load_dwordx4 v[1:4], v[9:10], off offset:32
	global_load_dwordx4 v[5:8], v[9:10], off offset:16
	global_load_dwordx4 v[9:12], v[9:10], off
	s_cbranch_scc1 .LBB9_47
; %bb.46:
	s_lshl_b64 s[0:1], s[12:13], 2
	s_add_u32 s0, s10, s0
	s_addc_u32 s1, s11, s1
	global_load_dword v20, v17, s[0:1]
	s_branch .LBB9_48
.LBB9_47:
	v_mov_b32_e32 v20, 0
.LBB9_48:
	s_load_dwordx2 s[0:1], s[4:5], 0x40
	s_waitcnt lgkmcnt(0)
	s_sub_u32 s8, s0, s14
	s_subb_u32 s9, s1, s15
	v_cmp_lt_i64_e64 s0, s[8:9], 1
	s_and_b32 vcc_lo, exec_lo, s0
	s_cbranch_vccnz .LBB9_51
; %bb.49:
	s_load_dwordx4 s[0:3], s[4:5], 0x30
	v_mad_u32_u24 v0, 0xb8, v0, 0
	v_cmp_lt_u64_e64 s4, s[8:9], 32
	ds_read_b32 v16, v0
	s_waitcnt lgkmcnt(0)
	s_ashr_i32 s3, s1, 31
	s_ashr_i32 s11, s0, 31
	s_mul_i32 s5, s2, s6
	s_mul_hi_u32 s6, s14, s1
	s_mul_i32 s7, s15, s1
	s_mul_i32 s10, s14, s1
	s_mul_hi_u32 s15, s12, s0
	s_mul_i32 s13, s13, s0
	s_mul_i32 s18, s12, s0
	s_ashr_i32 s2, s1, 2
	s_mul_i32 s0, s14, s3
	s_mul_i32 s1, s12, s11
	s_add_i32 s0, s6, s0
	s_add_i32 s1, s15, s1
	s_ashr_i32 s19, s5, 31
	s_ashr_i32 s3, s2, 31
	s_add_i32 s6, s0, s7
	s_add_i32 s7, s1, s13
	s_and_b32 s0, s4, exec_lo
	s_cselect_b32 s1, s9, 0
	s_cselect_b32 s0, s8, 32
	s_add_u32 s4, s18, s10
	s_addc_u32 s6, s7, s6
	s_add_u32 s5, s16, s5
	s_addc_u32 s7, s17, s19
	;; [unrolled: 2-line block ×3, first 2 shown]
	v_add_co_u32 v18, s4, s4, v17
	v_add_co_ci_u32_e64 v19, null, s5, 0, s4
	s_lshl_b64 s[2:3], s[2:3], 2
.LBB9_50:                               ; =>This Inner Loop Header: Depth=1
	s_waitcnt vmcnt(0)
	v_fma_f32 v33, v9, v16, 0
	ds_read2_b32 v[16:17], v0 offset0:1 offset1:2
	ds_read2_b32 v[21:22], v0 offset0:3 offset1:4
	;; [unrolled: 1-line block ×7, first 2 shown]
	v_add_nc_u32_e32 v34, 4, v0
	s_add_u32 s0, s0, -1
	s_addc_u32 s1, s1, -1
	s_cmp_lg_u64 s[0:1], 0
	s_waitcnt lgkmcnt(6)
	v_fmac_f32_e32 v33, v10, v16
	v_fmac_f32_e32 v33, v11, v17
	s_waitcnt lgkmcnt(5)
	v_fmac_f32_e32 v33, v12, v21
	v_fmac_f32_e32 v33, v5, v22
	;; [unrolled: 3-line block ×7, first 2 shown]
	v_add_f32_e32 v17, v20, v33
	v_mul_f32_e32 v0, 0xbfb8aa3b, v17
	v_cmp_nlt_f32_e32 vcc_lo, 0x42ce8ed0, v17
	v_fma_f32 v21, 0xbfb8aa3b, v17, -v0
	v_rndne_f32_e32 v22, v0
	v_fmac_f32_e32 v21, 0xb2a5705f, v17
	v_sub_f32_e32 v0, v0, v22
	v_add_f32_e32 v0, v0, v21
	v_cvt_i32_f32_e32 v21, v22
	v_exp_f32_e32 v0, v0
	v_ldexp_f32 v0, v0, v21
	v_cndmask_b32_e32 v0, 0, v0, vcc_lo
	v_cmp_ngt_f32_e32 vcc_lo, 0xc2b17218, v17
	v_cndmask_b32_e32 v0, 0x7f800000, v0, vcc_lo
	v_add_f32_e32 v21, 1.0, v0
	v_mov_b32_e32 v0, v34
	v_div_scale_f32 v22, null, v21, v21, v17
	v_div_scale_f32 v24, vcc_lo, v17, v21, v17
	v_rcp_f32_e32 v23, v22
	v_fma_f32 v25, -v22, v23, 1.0
	v_fmac_f32_e32 v23, v25, v23
	v_mul_f32_e32 v25, v24, v23
	v_fma_f32 v26, -v22, v25, v24
	v_fmac_f32_e32 v25, v26, v23
	v_fma_f32 v22, -v22, v25, v24
	v_div_fmas_f32 v22, v22, v23, v25
	v_div_fixup_f32 v17, v22, v21, v17
	global_store_dword v[18:19], v17, off
	v_add_co_u32 v18, vcc_lo, v18, s2
	v_add_co_ci_u32_e64 v19, null, s3, v19, vcc_lo
	s_cbranch_scc1 .LBB9_50
.LBB9_51:
	s_endpgm
	.section	.rodata,"a",@progbits
	.p2align	6, 0x0
	.amdhsa_kernel _ZL23ssm_conv_long_token_f32ILb1ELm128ELm15ELl32EEvPKfS1_S1_iiiiPfiiil
		.amdhsa_group_segment_fixed_size 0
		.amdhsa_private_segment_fixed_size 0
		.amdhsa_kernarg_size 72
		.amdhsa_user_sgpr_count 6
		.amdhsa_user_sgpr_private_segment_buffer 1
		.amdhsa_user_sgpr_dispatch_ptr 0
		.amdhsa_user_sgpr_queue_ptr 0
		.amdhsa_user_sgpr_kernarg_segment_ptr 1
		.amdhsa_user_sgpr_dispatch_id 0
		.amdhsa_user_sgpr_flat_scratch_init 0
		.amdhsa_user_sgpr_private_segment_size 0
		.amdhsa_wavefront_size32 1
		.amdhsa_uses_dynamic_stack 0
		.amdhsa_system_sgpr_private_segment_wavefront_offset 0
		.amdhsa_system_sgpr_workgroup_id_x 1
		.amdhsa_system_sgpr_workgroup_id_y 1
		.amdhsa_system_sgpr_workgroup_id_z 1
		.amdhsa_system_sgpr_workgroup_info 0
		.amdhsa_system_vgpr_workitem_id 0
		.amdhsa_next_free_vgpr 61
		.amdhsa_next_free_sgpr 20
		.amdhsa_reserve_vcc 1
		.amdhsa_reserve_flat_scratch 0
		.amdhsa_float_round_mode_32 0
		.amdhsa_float_round_mode_16_64 0
		.amdhsa_float_denorm_mode_32 3
		.amdhsa_float_denorm_mode_16_64 3
		.amdhsa_dx10_clamp 1
		.amdhsa_ieee_mode 1
		.amdhsa_fp16_overflow 0
		.amdhsa_workgroup_processor_mode 1
		.amdhsa_memory_ordered 1
		.amdhsa_forward_progress 1
		.amdhsa_shared_vgpr_count 0
		.amdhsa_exception_fp_ieee_invalid_op 0
		.amdhsa_exception_fp_denorm_src 0
		.amdhsa_exception_fp_ieee_div_zero 0
		.amdhsa_exception_fp_ieee_overflow 0
		.amdhsa_exception_fp_ieee_underflow 0
		.amdhsa_exception_fp_ieee_inexact 0
		.amdhsa_exception_int_div_zero 0
	.end_amdhsa_kernel
	.section	.text._ZL23ssm_conv_long_token_f32ILb1ELm128ELm15ELl32EEvPKfS1_S1_iiiiPfiiil,"axG",@progbits,_ZL23ssm_conv_long_token_f32ILb1ELm128ELm15ELl32EEvPKfS1_S1_iiiiPfiiil,comdat
.Lfunc_end9:
	.size	_ZL23ssm_conv_long_token_f32ILb1ELm128ELm15ELl32EEvPKfS1_S1_iiiiPfiiil, .Lfunc_end9-_ZL23ssm_conv_long_token_f32ILb1ELm128ELm15ELl32EEvPKfS1_S1_iiiiPfiiil
                                        ; -- End function
	.set _ZL23ssm_conv_long_token_f32ILb1ELm128ELm15ELl32EEvPKfS1_S1_iiiiPfiiil.num_vgpr, 61
	.set _ZL23ssm_conv_long_token_f32ILb1ELm128ELm15ELl32EEvPKfS1_S1_iiiiPfiiil.num_agpr, 0
	.set _ZL23ssm_conv_long_token_f32ILb1ELm128ELm15ELl32EEvPKfS1_S1_iiiiPfiiil.numbered_sgpr, 20
	.set _ZL23ssm_conv_long_token_f32ILb1ELm128ELm15ELl32EEvPKfS1_S1_iiiiPfiiil.num_named_barrier, 0
	.set _ZL23ssm_conv_long_token_f32ILb1ELm128ELm15ELl32EEvPKfS1_S1_iiiiPfiiil.private_seg_size, 0
	.set _ZL23ssm_conv_long_token_f32ILb1ELm128ELm15ELl32EEvPKfS1_S1_iiiiPfiiil.uses_vcc, 1
	.set _ZL23ssm_conv_long_token_f32ILb1ELm128ELm15ELl32EEvPKfS1_S1_iiiiPfiiil.uses_flat_scratch, 0
	.set _ZL23ssm_conv_long_token_f32ILb1ELm128ELm15ELl32EEvPKfS1_S1_iiiiPfiiil.has_dyn_sized_stack, 0
	.set _ZL23ssm_conv_long_token_f32ILb1ELm128ELm15ELl32EEvPKfS1_S1_iiiiPfiiil.has_recursion, 0
	.set _ZL23ssm_conv_long_token_f32ILb1ELm128ELm15ELl32EEvPKfS1_S1_iiiiPfiiil.has_indirect_call, 0
	.section	.AMDGPU.csdata,"",@progbits
; Kernel info:
; codeLenInByte = 8500
; TotalNumSgprs: 22
; NumVgprs: 61
; ScratchSize: 0
; MemoryBound: 0
; FloatMode: 240
; IeeeMode: 1
; LDSByteSize: 0 bytes/workgroup (compile time only)
; SGPRBlocks: 0
; VGPRBlocks: 7
; NumSGPRsForWavesPerEU: 22
; NumVGPRsForWavesPerEU: 61
; Occupancy: 16
; WaveLimiterHint : 0
; COMPUTE_PGM_RSRC2:SCRATCH_EN: 0
; COMPUTE_PGM_RSRC2:USER_SGPR: 6
; COMPUTE_PGM_RSRC2:TRAP_HANDLER: 0
; COMPUTE_PGM_RSRC2:TGID_X_EN: 1
; COMPUTE_PGM_RSRC2:TGID_Y_EN: 1
; COMPUTE_PGM_RSRC2:TGID_Z_EN: 1
; COMPUTE_PGM_RSRC2:TIDIG_COMP_CNT: 0
	.section	.text._ZL12ssm_conv_f32ILb0ELm128ELm3EEvPKfS1_S1_iiiiPfiiil,"axG",@progbits,_ZL12ssm_conv_f32ILb0ELm128ELm3EEvPKfS1_S1_iiiiPfiiil,comdat
	.globl	_ZL12ssm_conv_f32ILb0ELm128ELm3EEvPKfS1_S1_iiiiPfiiil ; -- Begin function _ZL12ssm_conv_f32ILb0ELm128ELm3EEvPKfS1_S1_iiiiPfiiil
	.p2align	8
	.type	_ZL12ssm_conv_f32ILb0ELm128ELm3EEvPKfS1_S1_iiiiPfiiil,@function
_ZL12ssm_conv_f32ILb0ELm128ELm3EEvPKfS1_S1_iiiiPfiiil: ; @_ZL12ssm_conv_f32ILb0ELm128ELm3EEvPKfS1_S1_iiiiPfiiil
; %bb.0:
	s_clause 0x2
	s_load_dwordx4 s[8:11], s[4:5], 0x1c
	s_load_dwordx4 s[0:3], s[4:5], 0x0
	s_load_dwordx2 s[12:13], s[4:5], 0x10
	s_mov_b32 s14, s7
	s_ashr_i32 s15, s7, 31
	v_lshlrev_b32_e32 v8, 2, v0
	s_lshl_b64 s[18:19], s[14:15], 7
	s_lshr_b64 s[14:15], s[14:15], 25
	s_waitcnt lgkmcnt(0)
	s_ashr_i32 s7, s10, 31
	s_mul_hi_u32 s11, s18, s10
	s_mul_i32 s7, s18, s7
	s_mul_i32 s14, s14, s10
	s_add_i32 s7, s11, s7
	s_mul_i32 s11, s18, s10
	s_add_i32 s14, s7, s14
	s_add_u32 s7, s2, s11
	s_addc_u32 s11, s3, s14
	s_cmp_eq_u64 s[12:13], 0
	s_cbranch_scc1 .LBB10_2
; %bb.1:
	s_lshl_b64 s[2:3], s[18:19], 2
	s_add_u32 s2, s12, s2
	s_addc_u32 s3, s13, s3
	global_load_dword v10, v8, s[2:3]
	s_load_dwordx2 s[2:3], s[4:5], 0x40
	s_waitcnt lgkmcnt(0)
	v_cmp_lt_i64_e64 s12, s[2:3], 1
	s_and_b32 vcc_lo, exec_lo, s12
	s_cbranch_vccz .LBB10_3
	s_branch .LBB10_6
.LBB10_2:
	v_mov_b32_e32 v10, 0
	s_load_dwordx2 s[2:3], s[4:5], 0x40
	s_waitcnt lgkmcnt(0)
	v_cmp_lt_i64_e64 s12, s[2:3], 1
	s_and_b32 vcc_lo, exec_lo, s12
	s_cbranch_vccnz .LBB10_6
.LBB10_3:
	s_clause 0x1
	s_load_dwordx4 s[12:15], s[4:5], 0x30
	s_load_dwordx2 s[16:17], s[4:5], 0x28
	s_mul_i32 s4, s9, s6
	s_ashr_i32 s9, s8, 31
	s_waitcnt lgkmcnt(0)
	s_mul_hi_u32 s15, s18, s8
	s_mul_i32 s9, s18, s9
	s_ashr_i32 s10, s10, 2
	s_mul_i32 s20, s19, s8
	s_add_i32 s9, s15, s9
	v_mul_lo_u32 v1, s10, v0
	s_ashr_i32 s10, s4, 31
	s_mul_i32 s5, s18, s8
	v_ashrrev_i32_e32 v2, 31, v1
	s_mul_i32 s6, s14, s6
	s_add_i32 s14, s9, s20
	s_ashr_i32 s9, s6, 31
	s_add_u32 s20, s16, s6
	s_addc_u32 s21, s17, s9
	s_ashr_i32 s15, s12, 31
	s_mul_hi_u32 s22, s18, s12
	s_mul_i32 s15, s18, s15
	s_mul_i32 s19, s19, s12
	s_add_i32 s15, s22, s15
	s_mul_i32 s12, s18, s12
	s_add_i32 s15, s15, s19
	s_add_u32 s18, s20, s12
	s_addc_u32 s19, s21, s15
	s_add_u32 s20, s0, s4
	s_addc_u32 s21, s1, s10
	;; [unrolled: 2-line block ×3, first 2 shown]
	s_ashr_i32 s8, s8, 2
	s_cmp_eq_u64 s[2:3], 1
	v_mul_lo_u32 v3, s8, v0
	v_lshlrev_b64 v[0:1], 2, v[1:2]
	v_add_co_u32 v0, vcc_lo, s7, v0
	v_ashrrev_i32_e32 v4, 31, v3
	v_add_co_ci_u32_e64 v1, null, s11, v1, vcc_lo
	v_lshlrev_b64 v[6:7], 2, v[3:4]
	v_add_co_u32 v3, vcc_lo, s20, v6
	v_add_co_ci_u32_e64 v4, null, s21, v7, vcc_lo
	global_load_dwordx3 v[0:2], v[0:1], off
	global_load_dwordx3 v[3:5], v[3:4], off
	s_waitcnt vmcnt(0)
	v_fma_f32 v9, v0, v3, 0
	v_fmac_f32_e32 v9, v1, v4
	v_fmac_f32_e32 v9, v2, v5
	v_add_f32_e32 v9, v10, v9
	global_store_dword v8, v9, s[18:19]
	s_cbranch_scc1 .LBB10_6
; %bb.4:
	s_ashr_i32 s18, s13, 2
	s_ashr_i32 s19, s18, 31
	s_add_u32 s2, s2, -1
	s_addc_u32 s3, s3, -1
	s_add_u32 s0, s0, s4
	s_addc_u32 s1, s1, s10
	s_add_u32 s0, s0, s5
	s_addc_u32 s1, s1, s14
	s_lshl_b64 s[4:5], s[18:19], 2
	v_add_co_u32 v6, vcc_lo, s0, v6
	s_add_u32 s0, s12, s4
	v_add_co_ci_u32_e64 v7, null, s1, v7, vcc_lo
	s_addc_u32 s1, s15, s5
	s_add_u32 s6, s16, s6
	s_addc_u32 s7, s17, s9
	s_add_u32 s0, s6, s0
	v_add_co_u32 v6, vcc_lo, v6, 12
	s_addc_u32 s1, s7, s1
	v_add_co_u32 v8, s0, s0, v8
	v_add_co_ci_u32_e64 v7, null, 0, v7, vcc_lo
	v_add_co_ci_u32_e64 v9, null, s1, 0, s0
	s_mov_b64 s[6:7], 1
	s_mov_b64 s[8:9], 3
	;; [unrolled: 1-line block ×4, first 2 shown]
.LBB10_5:                               ; =>This Inner Loop Header: Depth=1
	global_load_dword v11, v[6:7], off
	s_mul_i32 s15, s7, 0xaaaaaaab
	s_mul_hi_u32 s16, s6, 0xaaaaaaab
	s_mul_hi_u32 s14, s7, 0xaaaaaaab
	s_mul_i32 s1, s6, 0xaaaaaaaa
	s_add_u32 s15, s15, s16
	s_mul_hi_u32 s0, s6, 0xaaaaaaaa
	s_addc_u32 s14, s14, 0
	s_add_u32 s1, s1, s15
	s_addc_u32 s0, s0, 0
	s_mul_i32 s18, s7, 0xaaaaaaaa
	s_add_u32 s0, s14, s0
	s_mul_hi_u32 s17, s7, 0xaaaaaaaa
	s_addc_u32 s1, 0, 0
	s_add_u32 s0, s18, s0
	s_addc_u32 s1, s17, s1
	s_mul_i32 s22, s9, 0xaaaaaaab
	s_lshr_b64 s[0:1], s[0:1], 1
	s_mul_hi_u32 s23, s8, 0xaaaaaaab
	s_mul_i32 s0, s0, 3
	s_mul_hi_u32 s21, s9, 0xaaaaaaab
	s_sub_i32 s14, s6, s0
	s_mul_i32 s20, s8, 0xaaaaaaaa
	s_add_u32 s0, s22, s23
	s_mul_hi_u32 s19, s8, 0xaaaaaaaa
	s_addc_u32 s1, s21, 0
	s_add_u32 s0, s20, s0
	s_addc_u32 s0, s19, 0
	s_mul_i32 s25, s9, 0xaaaaaaaa
	s_add_u32 s0, s1, s0
	s_mul_hi_u32 s24, s9, 0xaaaaaaaa
	s_addc_u32 s1, 0, 0
	s_add_u32 s0, s25, s0
	s_addc_u32 s1, s24, s1
	s_mul_i32 s29, s11, 0xaaaaaaab
	s_lshr_b64 s[0:1], s[0:1], 1
	s_mul_hi_u32 s30, s10, 0xaaaaaaab
	s_mul_i32 s0, s0, 3
	s_mul_hi_u32 s28, s11, 0xaaaaaaab
	s_sub_i32 s15, s8, s0
	;; [unrolled: 18-line block ×3, first 2 shown]
	s_mul_i32 s35, s12, 0xaaaaaaaa
	s_add_u32 s0, s37, s38
	s_mul_hi_u32 s34, s12, 0xaaaaaaaa
	s_addc_u32 s1, s36, 0
	s_add_u32 s0, s35, s0
	s_addc_u32 s0, s34, 0
	s_mul_i32 s40, s13, 0xaaaaaaaa
	s_add_u32 s0, s1, s0
	s_mul_hi_u32 s39, s13, 0xaaaaaaaa
	s_addc_u32 s1, 0, 0
	s_add_u32 s0, s40, s0
	s_addc_u32 s1, s39, s1
	v_add_co_u32 v6, vcc_lo, v6, 4
	s_lshr_b64 s[0:1], s[0:1], 1
	v_add_co_ci_u32_e64 v7, null, 0, v7, vcc_lo
	s_mul_i32 s0, s0, 3
	s_sub_i32 s1, s12, s0
	s_cmp_eq_u32 s1, 2
	s_cselect_b32 vcc_lo, -1, 0
	s_cmp_eq_u32 s1, 1
	s_cselect_b32 s0, -1, 0
	s_cmp_eq_u32 s1, 0
	s_cselect_b32 s1, -1, 0
	s_cmp_eq_u32 s14, 1
	s_waitcnt vmcnt(0)
	v_cndmask_b32_e64 v4, v4, v11, s0
	v_cndmask_b32_e64 v3, v3, v11, s1
	v_cndmask_b32_e32 v5, v5, v11, vcc_lo
	s_cselect_b32 vcc_lo, -1, 0
	s_cmp_eq_u32 s14, 2
	v_cndmask_b32_e32 v11, v3, v4, vcc_lo
	s_cselect_b32 vcc_lo, -1, 0
	s_add_u32 s6, s6, 1
	s_addc_u32 s7, s7, 0
	s_cmp_eq_u32 s16, 1
	v_cndmask_b32_e32 v11, v11, v5, vcc_lo
	s_cselect_b32 s0, -1, 0
	s_cmp_eq_u32 s16, 2
	v_cndmask_b32_e64 v12, v3, v4, s0
	s_cselect_b32 vcc_lo, -1, 0
	s_cmp_eq_u32 s15, 1
	v_fma_f32 v11, v0, v11, 0
	s_cselect_b32 s0, -1, 0
	v_cndmask_b32_e32 v12, v12, v5, vcc_lo
	v_cndmask_b32_e64 v13, v3, v4, s0
	s_cmp_eq_u32 s15, 2
	s_cselect_b32 vcc_lo, -1, 0
	v_fmac_f32_e32 v11, v1, v12
	v_cndmask_b32_e32 v13, v13, v5, vcc_lo
	s_add_u32 s8, s8, 1
	s_addc_u32 s9, s9, 0
	s_add_u32 s2, s2, -1
	s_addc_u32 s3, s3, -1
	v_fmac_f32_e32 v11, v2, v13
	s_add_u32 s10, s10, 1
	s_addc_u32 s11, s11, 0
	s_add_u32 s12, s12, 1
	s_addc_u32 s13, s13, 0
	v_add_f32_e32 v11, v10, v11
	s_cmp_eq_u64 s[2:3], 0
	global_store_dword v[8:9], v11, off
	v_add_co_u32 v8, vcc_lo, v8, s4
	v_add_co_ci_u32_e64 v9, null, s5, v9, vcc_lo
	s_cbranch_scc0 .LBB10_5
.LBB10_6:
	s_endpgm
	.section	.rodata,"a",@progbits
	.p2align	6, 0x0
	.amdhsa_kernel _ZL12ssm_conv_f32ILb0ELm128ELm3EEvPKfS1_S1_iiiiPfiiil
		.amdhsa_group_segment_fixed_size 0
		.amdhsa_private_segment_fixed_size 0
		.amdhsa_kernarg_size 72
		.amdhsa_user_sgpr_count 6
		.amdhsa_user_sgpr_private_segment_buffer 1
		.amdhsa_user_sgpr_dispatch_ptr 0
		.amdhsa_user_sgpr_queue_ptr 0
		.amdhsa_user_sgpr_kernarg_segment_ptr 1
		.amdhsa_user_sgpr_dispatch_id 0
		.amdhsa_user_sgpr_flat_scratch_init 0
		.amdhsa_user_sgpr_private_segment_size 0
		.amdhsa_wavefront_size32 1
		.amdhsa_uses_dynamic_stack 0
		.amdhsa_system_sgpr_private_segment_wavefront_offset 0
		.amdhsa_system_sgpr_workgroup_id_x 1
		.amdhsa_system_sgpr_workgroup_id_y 1
		.amdhsa_system_sgpr_workgroup_id_z 0
		.amdhsa_system_sgpr_workgroup_info 0
		.amdhsa_system_vgpr_workitem_id 0
		.amdhsa_next_free_vgpr 14
		.amdhsa_next_free_sgpr 41
		.amdhsa_reserve_vcc 1
		.amdhsa_reserve_flat_scratch 0
		.amdhsa_float_round_mode_32 0
		.amdhsa_float_round_mode_16_64 0
		.amdhsa_float_denorm_mode_32 3
		.amdhsa_float_denorm_mode_16_64 3
		.amdhsa_dx10_clamp 1
		.amdhsa_ieee_mode 1
		.amdhsa_fp16_overflow 0
		.amdhsa_workgroup_processor_mode 1
		.amdhsa_memory_ordered 1
		.amdhsa_forward_progress 1
		.amdhsa_shared_vgpr_count 0
		.amdhsa_exception_fp_ieee_invalid_op 0
		.amdhsa_exception_fp_denorm_src 0
		.amdhsa_exception_fp_ieee_div_zero 0
		.amdhsa_exception_fp_ieee_overflow 0
		.amdhsa_exception_fp_ieee_underflow 0
		.amdhsa_exception_fp_ieee_inexact 0
		.amdhsa_exception_int_div_zero 0
	.end_amdhsa_kernel
	.section	.text._ZL12ssm_conv_f32ILb0ELm128ELm3EEvPKfS1_S1_iiiiPfiiil,"axG",@progbits,_ZL12ssm_conv_f32ILb0ELm128ELm3EEvPKfS1_S1_iiiiPfiiil,comdat
.Lfunc_end10:
	.size	_ZL12ssm_conv_f32ILb0ELm128ELm3EEvPKfS1_S1_iiiiPfiiil, .Lfunc_end10-_ZL12ssm_conv_f32ILb0ELm128ELm3EEvPKfS1_S1_iiiiPfiiil
                                        ; -- End function
	.set _ZL12ssm_conv_f32ILb0ELm128ELm3EEvPKfS1_S1_iiiiPfiiil.num_vgpr, 14
	.set _ZL12ssm_conv_f32ILb0ELm128ELm3EEvPKfS1_S1_iiiiPfiiil.num_agpr, 0
	.set _ZL12ssm_conv_f32ILb0ELm128ELm3EEvPKfS1_S1_iiiiPfiiil.numbered_sgpr, 41
	.set _ZL12ssm_conv_f32ILb0ELm128ELm3EEvPKfS1_S1_iiiiPfiiil.num_named_barrier, 0
	.set _ZL12ssm_conv_f32ILb0ELm128ELm3EEvPKfS1_S1_iiiiPfiiil.private_seg_size, 0
	.set _ZL12ssm_conv_f32ILb0ELm128ELm3EEvPKfS1_S1_iiiiPfiiil.uses_vcc, 1
	.set _ZL12ssm_conv_f32ILb0ELm128ELm3EEvPKfS1_S1_iiiiPfiiil.uses_flat_scratch, 0
	.set _ZL12ssm_conv_f32ILb0ELm128ELm3EEvPKfS1_S1_iiiiPfiiil.has_dyn_sized_stack, 0
	.set _ZL12ssm_conv_f32ILb0ELm128ELm3EEvPKfS1_S1_iiiiPfiiil.has_recursion, 0
	.set _ZL12ssm_conv_f32ILb0ELm128ELm3EEvPKfS1_S1_iiiiPfiiil.has_indirect_call, 0
	.section	.AMDGPU.csdata,"",@progbits
; Kernel info:
; codeLenInByte = 1216
; TotalNumSgprs: 43
; NumVgprs: 14
; ScratchSize: 0
; MemoryBound: 0
; FloatMode: 240
; IeeeMode: 1
; LDSByteSize: 0 bytes/workgroup (compile time only)
; SGPRBlocks: 0
; VGPRBlocks: 1
; NumSGPRsForWavesPerEU: 43
; NumVGPRsForWavesPerEU: 14
; Occupancy: 16
; WaveLimiterHint : 0
; COMPUTE_PGM_RSRC2:SCRATCH_EN: 0
; COMPUTE_PGM_RSRC2:USER_SGPR: 6
; COMPUTE_PGM_RSRC2:TRAP_HANDLER: 0
; COMPUTE_PGM_RSRC2:TGID_X_EN: 1
; COMPUTE_PGM_RSRC2:TGID_Y_EN: 1
; COMPUTE_PGM_RSRC2:TGID_Z_EN: 0
; COMPUTE_PGM_RSRC2:TIDIG_COMP_CNT: 0
	.section	.text._ZL23ssm_conv_long_token_f32ILb0ELm128ELm3ELl32EEvPKfS1_S1_iiiiPfiiil,"axG",@progbits,_ZL23ssm_conv_long_token_f32ILb0ELm128ELm3ELl32EEvPKfS1_S1_iiiiPfiiil,comdat
	.globl	_ZL23ssm_conv_long_token_f32ILb0ELm128ELm3ELl32EEvPKfS1_S1_iiiiPfiiil ; -- Begin function _ZL23ssm_conv_long_token_f32ILb0ELm128ELm3ELl32EEvPKfS1_S1_iiiiPfiiil
	.p2align	8
	.type	_ZL23ssm_conv_long_token_f32ILb0ELm128ELm3ELl32EEvPKfS1_S1_iiiiPfiiil,@function
_ZL23ssm_conv_long_token_f32ILb0ELm128ELm3ELl32EEvPKfS1_S1_iiiiPfiiil: ; @_ZL23ssm_conv_long_token_f32ILb0ELm128ELm3ELl32EEvPKfS1_S1_iiiiPfiiil
; %bb.0:
	s_clause 0x1
	s_load_dwordx2 s[12:13], s[4:5], 0x0
	s_load_dwordx4 s[0:3], s[4:5], 0x18
	s_mov_b32 s10, s7
	v_mul_u32_u24_e32 v1, 0x788, v0
	v_lshrrev_b32_e32 v4, 16, v1
	v_mul_lo_u16 v1, v4, 34
	v_sub_nc_u16 v5, v0, v1
	s_waitcnt lgkmcnt(0)
	s_mul_i32 s2, s2, s6
	v_and_b32_e32 v1, 0xffff, v5
	s_ashr_i32 s7, s2, 31
	s_add_u32 s2, s12, s2
	s_addc_u32 s7, s13, s7
	s_ashr_i32 s11, s10, 31
	s_ashr_i32 s9, s1, 31
	s_lshl_b64 s[12:13], s[10:11], 7
	s_lshr_b64 s[10:11], s[10:11], 25
	s_mul_i32 s9, s12, s9
	s_mul_hi_u32 s14, s12, s1
	s_mul_i32 s10, s10, s1
	s_add_i32 s9, s14, s9
	s_add_i32 s9, s9, s10
	s_mul_i32 s10, s12, s1
	s_add_u32 s2, s2, s10
	s_addc_u32 s7, s7, s9
	s_ashr_i32 s9, s8, 31
	s_ashr_i32 s10, s0, 31
	s_lshl_b64 s[14:15], s[8:9], 5
	s_lshr_b64 s[8:9], s[8:9], 27
	s_mul_i32 s10, s14, s10
	s_mul_hi_u32 s11, s14, s0
	s_mul_i32 s8, s8, s0
	s_add_i32 s10, s11, s10
	s_mul_i32 s0, s14, s0
	s_add_i32 s10, s10, s8
	s_add_u32 s0, s2, s0
	s_addc_u32 s2, s7, s10
	s_ashr_i32 s1, s1, 2
	s_mov_b32 s7, exec_lo
	v_mad_u64_u32 v[2:3], null, s1, v4, v[1:2]
	v_lshlrev_b32_e32 v1, 2, v1
	v_ashrrev_i32_e32 v3, 31, v2
	v_lshlrev_b64 v[2:3], 2, v[2:3]
	v_add_co_u32 v2, vcc_lo, s0, v2
	v_add_co_ci_u32_e64 v3, null, s2, v3, vcc_lo
	global_load_dword v2, v[2:3], off
	v_mul_u32_u24_e32 v3, 0x88, v4
	v_add3_u32 v1, 0, v3, v1
	s_waitcnt vmcnt(0)
	ds_write_b32 v1, v2
	v_or_b32_e32 v1, 0x80, v5
	v_mul_lo_u16 v2, 0xf1, v1
	v_lshrrev_b16 v2, 13, v2
	v_add_nc_u32_sdwa v4, v4, v2 dst_sel:DWORD dst_unused:UNUSED_PAD src0_sel:DWORD src1_sel:WORD_0
	v_mul_lo_u16 v2, v2, 34
	v_sub_nc_u16 v1, v1, v2
	v_and_b32_e32 v1, 0xff, v1
	v_mad_u64_u32 v[2:3], null, v4, s1, v[1:2]
	v_lshlrev_b32_e32 v5, 2, v1
	v_or_b32_e32 v1, 0x80, v1
	v_ashrrev_i32_e32 v3, 31, v2
	v_lshlrev_b64 v[2:3], 2, v[2:3]
	v_add_co_u32 v2, vcc_lo, s0, v2
	v_add_co_ci_u32_e64 v3, null, s2, v3, vcc_lo
	global_load_dword v2, v[2:3], off
	v_mul_u32_u24_e32 v3, 0x88, v4
	v_add3_u32 v3, 0, v3, v5
	s_waitcnt vmcnt(0)
	ds_write_b32 v3, v2
	v_mul_lo_u16 v2, 0xf1, v1
	v_lshrrev_b16 v2, 13, v2
	v_add_nc_u32_sdwa v4, v4, v2 dst_sel:DWORD dst_unused:UNUSED_PAD src0_sel:DWORD src1_sel:WORD_0
	v_mul_lo_u16 v2, v2, 34
	v_sub_nc_u16 v1, v1, v2
	v_and_b32_e32 v1, 0xff, v1
	v_mad_u64_u32 v[2:3], null, v4, s1, v[1:2]
	v_lshlrev_b32_e32 v5, 2, v1
	v_or_b32_e32 v1, 0x80, v1
	v_ashrrev_i32_e32 v3, 31, v2
	v_lshlrev_b64 v[2:3], 2, v[2:3]
	v_add_co_u32 v2, vcc_lo, s0, v2
	v_add_co_ci_u32_e64 v3, null, s2, v3, vcc_lo
	global_load_dword v2, v[2:3], off
	v_mul_u32_u24_e32 v3, 0x88, v4
	v_add3_u32 v3, 0, v3, v5
	s_waitcnt vmcnt(0)
	ds_write_b32 v3, v2
	;; [unrolled: 18-line block ×5, first 2 shown]
	v_mul_lo_u16 v2, 0xf1, v1
	v_lshrrev_b16 v2, 13, v2
	v_add_nc_u32_sdwa v4, v4, v2 dst_sel:DWORD dst_unused:UNUSED_PAD src0_sel:DWORD src1_sel:WORD_0
	v_mul_lo_u16 v2, v2, 34
	v_sub_nc_u16 v1, v1, v2
	v_and_b32_e32 v1, 0xff, v1
	v_mad_u64_u32 v[2:3], null, v4, s1, v[1:2]
	v_lshlrev_b32_e32 v5, 2, v1
	v_or_b32_e32 v1, 0x80, v1
	v_ashrrev_i32_e32 v3, 31, v2
	v_lshlrev_b64 v[2:3], 2, v[2:3]
	v_add_co_u32 v2, vcc_lo, s0, v2
	v_add_co_ci_u32_e64 v3, null, s2, v3, vcc_lo
	global_load_dword v2, v[2:3], off
	v_mul_lo_u32 v3, 0x88, v4
	v_add3_u32 v3, 0, v3, v5
	s_waitcnt vmcnt(0)
	ds_write_b32 v3, v2
	v_mul_lo_u16 v2, 0xf1, v1
	v_lshrrev_b16 v2, 13, v2
	v_add_nc_u32_sdwa v4, v4, v2 dst_sel:DWORD dst_unused:UNUSED_PAD src0_sel:DWORD src1_sel:WORD_0
	v_mul_lo_u16 v2, v2, 34
	v_sub_nc_u16 v1, v1, v2
	v_and_b32_e32 v1, 0xff, v1
	v_mad_u64_u32 v[2:3], null, v4, s1, v[1:2]
	v_lshlrev_b32_e32 v5, 2, v1
	v_or_b32_e32 v1, 0x80, v1
	v_ashrrev_i32_e32 v3, 31, v2
	v_lshlrev_b64 v[2:3], 2, v[2:3]
	v_add_co_u32 v2, vcc_lo, s0, v2
	v_add_co_ci_u32_e64 v3, null, s2, v3, vcc_lo
	global_load_dword v2, v[2:3], off
	v_mul_lo_u32 v3, 0x88, v4
	v_add3_u32 v3, 0, v3, v5
	s_waitcnt vmcnt(0)
	ds_write_b32 v3, v2
	;; [unrolled: 18-line block ×14, first 2 shown]
	v_mul_lo_u16 v2, 0xf1, v1
	v_lshrrev_b16 v3, 13, v2
	v_add_nc_u32_sdwa v2, v4, v3 dst_sel:DWORD dst_unused:UNUSED_PAD src0_sel:DWORD src1_sel:WORD_0
	v_mul_lo_u16 v3, v3, 34
	v_sub_nc_u16 v1, v1, v3
	v_and_b32_e32 v1, 0xff, v1
	v_cmpx_gt_u32_e32 0x80, v2
	s_cbranch_execz .LBB11_2
; %bb.1:
	v_mad_u64_u32 v[3:4], null, v2, s1, v[1:2]
	v_lshlrev_b32_e32 v5, 2, v1
	v_ashrrev_i32_e32 v4, 31, v3
	v_lshlrev_b64 v[3:4], 2, v[3:4]
	v_add_co_u32 v3, vcc_lo, s0, v3
	v_add_co_ci_u32_e64 v4, null, s2, v4, vcc_lo
	global_load_dword v3, v[3:4], off
	v_mul_lo_u32 v4, 0x88, v2
	v_add3_u32 v4, 0, v4, v5
	s_waitcnt vmcnt(0)
	ds_write_b32 v4, v3
.LBB11_2:
	s_or_b32 exec_lo, exec_lo, s7
	v_or_b32_e32 v1, 0x80, v1
	s_mov_b32 s7, exec_lo
	v_mul_lo_u16 v3, 0xf1, v1
	v_lshrrev_b16 v3, 13, v3
	v_mul_lo_u16 v4, v3, 34
	v_add_nc_u32_sdwa v2, v2, v3 dst_sel:DWORD dst_unused:UNUSED_PAD src0_sel:DWORD src1_sel:WORD_0
	v_sub_nc_u16 v1, v1, v4
	v_and_b32_e32 v1, 0xff, v1
	v_cmpx_gt_u32_e32 0x80, v2
	s_cbranch_execz .LBB11_4
; %bb.3:
	v_mad_u64_u32 v[3:4], null, v2, s1, v[1:2]
	v_lshlrev_b32_e32 v5, 2, v1
	v_ashrrev_i32_e32 v4, 31, v3
	v_lshlrev_b64 v[3:4], 2, v[3:4]
	v_add_co_u32 v3, vcc_lo, s0, v3
	v_add_co_ci_u32_e64 v4, null, s2, v4, vcc_lo
	global_load_dword v3, v[3:4], off
	v_mul_lo_u32 v4, 0x88, v2
	v_add3_u32 v4, 0, v4, v5
	s_waitcnt vmcnt(0)
	ds_write_b32 v4, v3
.LBB11_4:
	s_or_b32 exec_lo, exec_lo, s7
	v_or_b32_e32 v1, 0x80, v1
	s_mov_b32 s7, exec_lo
	v_mul_lo_u16 v3, 0xf1, v1
	v_lshrrev_b16 v3, 13, v3
	v_mul_lo_u16 v4, v3, 34
	v_add_nc_u32_sdwa v2, v2, v3 dst_sel:DWORD dst_unused:UNUSED_PAD src0_sel:DWORD src1_sel:WORD_0
	v_sub_nc_u16 v1, v1, v4
	v_and_b32_e32 v1, 0xff, v1
	v_cmpx_gt_u32_e32 0x80, v2
	s_cbranch_execz .LBB11_6
; %bb.5:
	v_mad_u64_u32 v[3:4], null, v2, s1, v[1:2]
	v_lshlrev_b32_e32 v5, 2, v1
	v_ashrrev_i32_e32 v4, 31, v3
	v_lshlrev_b64 v[3:4], 2, v[3:4]
	v_add_co_u32 v3, vcc_lo, s0, v3
	v_add_co_ci_u32_e64 v4, null, s2, v4, vcc_lo
	global_load_dword v3, v[3:4], off
	v_mul_lo_u32 v4, 0x88, v2
	v_add3_u32 v4, 0, v4, v5
	s_waitcnt vmcnt(0)
	ds_write_b32 v4, v3
.LBB11_6:
	s_or_b32 exec_lo, exec_lo, s7
	v_or_b32_e32 v1, 0x80, v1
	s_mov_b32 s7, exec_lo
	v_mul_lo_u16 v3, 0xf1, v1
	v_lshrrev_b16 v3, 13, v3
	v_mul_lo_u16 v4, v3, 34
	v_add_nc_u32_sdwa v2, v2, v3 dst_sel:DWORD dst_unused:UNUSED_PAD src0_sel:DWORD src1_sel:WORD_0
	v_sub_nc_u16 v1, v1, v4
	v_and_b32_e32 v1, 0xff, v1
	v_cmpx_gt_u32_e32 0x80, v2
	s_cbranch_execz .LBB11_8
; %bb.7:
	v_mad_u64_u32 v[3:4], null, v2, s1, v[1:2]
	v_lshlrev_b32_e32 v5, 2, v1
	v_ashrrev_i32_e32 v4, 31, v3
	v_lshlrev_b64 v[3:4], 2, v[3:4]
	v_add_co_u32 v3, vcc_lo, s0, v3
	v_add_co_ci_u32_e64 v4, null, s2, v4, vcc_lo
	global_load_dword v3, v[3:4], off
	v_mul_lo_u32 v4, 0x88, v2
	v_add3_u32 v4, 0, v4, v5
	s_waitcnt vmcnt(0)
	ds_write_b32 v4, v3
.LBB11_8:
	s_or_b32 exec_lo, exec_lo, s7
	v_or_b32_e32 v1, 0x80, v1
	s_mov_b32 s7, exec_lo
	v_mul_lo_u16 v3, 0xf1, v1
	v_lshrrev_b16 v3, 13, v3
	v_mul_lo_u16 v4, v3, 34
	v_add_nc_u32_sdwa v2, v2, v3 dst_sel:DWORD dst_unused:UNUSED_PAD src0_sel:DWORD src1_sel:WORD_0
	v_sub_nc_u16 v1, v1, v4
	v_and_b32_e32 v1, 0xff, v1
	v_cmpx_gt_u32_e32 0x80, v2
	s_cbranch_execz .LBB11_10
; %bb.9:
	v_mad_u64_u32 v[3:4], null, v2, s1, v[1:2]
	v_lshlrev_b32_e32 v5, 2, v1
	v_ashrrev_i32_e32 v4, 31, v3
	v_lshlrev_b64 v[3:4], 2, v[3:4]
	v_add_co_u32 v3, vcc_lo, s0, v3
	v_add_co_ci_u32_e64 v4, null, s2, v4, vcc_lo
	global_load_dword v3, v[3:4], off
	v_mul_lo_u32 v4, 0x88, v2
	v_add3_u32 v4, 0, v4, v5
	s_waitcnt vmcnt(0)
	ds_write_b32 v4, v3
.LBB11_10:
	s_or_b32 exec_lo, exec_lo, s7
	v_or_b32_e32 v1, 0x80, v1
	s_mov_b32 s7, exec_lo
	v_mul_lo_u16 v3, 0xf1, v1
	v_lshrrev_b16 v3, 13, v3
	v_mul_lo_u16 v4, v3, 34
	v_add_nc_u32_sdwa v2, v2, v3 dst_sel:DWORD dst_unused:UNUSED_PAD src0_sel:DWORD src1_sel:WORD_0
	v_sub_nc_u16 v1, v1, v4
	v_and_b32_e32 v1, 0xff, v1
	v_cmpx_gt_u32_e32 0x80, v2
	s_cbranch_execz .LBB11_12
; %bb.11:
	v_mad_u64_u32 v[3:4], null, v2, s1, v[1:2]
	v_lshlrev_b32_e32 v5, 2, v1
	v_ashrrev_i32_e32 v4, 31, v3
	v_lshlrev_b64 v[3:4], 2, v[3:4]
	v_add_co_u32 v3, vcc_lo, s0, v3
	v_add_co_ci_u32_e64 v4, null, s2, v4, vcc_lo
	global_load_dword v3, v[3:4], off
	v_mul_lo_u32 v4, 0x88, v2
	v_add3_u32 v4, 0, v4, v5
	s_waitcnt vmcnt(0)
	ds_write_b32 v4, v3
.LBB11_12:
	s_or_b32 exec_lo, exec_lo, s7
	v_or_b32_e32 v1, 0x80, v1
	s_mov_b32 s7, exec_lo
	v_mul_lo_u16 v3, 0xf1, v1
	v_lshrrev_b16 v3, 13, v3
	v_mul_lo_u16 v4, v3, 34
	v_add_nc_u32_sdwa v2, v2, v3 dst_sel:DWORD dst_unused:UNUSED_PAD src0_sel:DWORD src1_sel:WORD_0
	v_sub_nc_u16 v1, v1, v4
	v_and_b32_e32 v1, 0xff, v1
	v_cmpx_gt_u32_e32 0x80, v2
	s_cbranch_execz .LBB11_14
; %bb.13:
	v_mad_u64_u32 v[3:4], null, v2, s1, v[1:2]
	v_lshlrev_b32_e32 v5, 2, v1
	v_ashrrev_i32_e32 v4, 31, v3
	v_lshlrev_b64 v[3:4], 2, v[3:4]
	v_add_co_u32 v3, vcc_lo, s0, v3
	v_add_co_ci_u32_e64 v4, null, s2, v4, vcc_lo
	global_load_dword v3, v[3:4], off
	v_mul_lo_u32 v4, 0x88, v2
	v_add3_u32 v4, 0, v4, v5
	s_waitcnt vmcnt(0)
	ds_write_b32 v4, v3
.LBB11_14:
	s_or_b32 exec_lo, exec_lo, s7
	s_clause 0x1
	s_load_dwordx4 s[8:11], s[4:5], 0x8
	s_load_dwordx2 s[16:17], s[4:5], 0x28
	s_mov_b32 s7, exec_lo
	v_cmpx_gt_u32_e32 0x380, v0
	s_cbranch_execz .LBB11_35
; %bb.15:
	v_or_b32_e32 v1, 0x80, v1
	s_mov_b32 s18, exec_lo
	v_mul_lo_u16 v3, 0xf1, v1
	v_lshrrev_b16 v3, 13, v3
	v_mul_lo_u16 v4, v3, 34
	v_add_nc_u32_sdwa v2, v2, v3 dst_sel:DWORD dst_unused:UNUSED_PAD src0_sel:DWORD src1_sel:WORD_0
	v_sub_nc_u16 v1, v1, v4
	v_and_b32_e32 v1, 0xff, v1
	v_cmpx_gt_u32_e32 0x80, v2
	s_cbranch_execz .LBB11_17
; %bb.16:
	v_mad_u64_u32 v[3:4], null, v2, s1, v[1:2]
	v_lshlrev_b32_e32 v5, 2, v1
	v_ashrrev_i32_e32 v4, 31, v3
	v_lshlrev_b64 v[3:4], 2, v[3:4]
	v_add_co_u32 v3, vcc_lo, s0, v3
	v_add_co_ci_u32_e64 v4, null, s2, v4, vcc_lo
	global_load_dword v3, v[3:4], off
	v_mul_lo_u32 v4, 0x88, v2
	v_add3_u32 v4, 0, v4, v5
	s_waitcnt vmcnt(0)
	ds_write_b32 v4, v3
.LBB11_17:
	s_or_b32 exec_lo, exec_lo, s18
	v_cmp_gt_u32_e32 vcc_lo, 0x300, v0
	s_and_b32 exec_lo, exec_lo, vcc_lo
	s_cbranch_execz .LBB11_35
; %bb.18:
	v_or_b32_e32 v1, 0x80, v1
	s_mov_b32 s18, exec_lo
	v_mul_lo_u16 v3, 0xf1, v1
	v_lshrrev_b16 v3, 13, v3
	v_mul_lo_u16 v4, v3, 34
	v_add_nc_u32_sdwa v2, v2, v3 dst_sel:DWORD dst_unused:UNUSED_PAD src0_sel:DWORD src1_sel:WORD_0
	v_sub_nc_u16 v1, v1, v4
	v_and_b32_e32 v1, 0xff, v1
	v_cmpx_gt_u32_e32 0x80, v2
	s_cbranch_execz .LBB11_20
; %bb.19:
	v_mad_u64_u32 v[3:4], null, v2, s1, v[1:2]
	v_lshlrev_b32_e32 v5, 2, v1
	v_ashrrev_i32_e32 v4, 31, v3
	v_lshlrev_b64 v[3:4], 2, v[3:4]
	v_add_co_u32 v3, vcc_lo, s0, v3
	v_add_co_ci_u32_e64 v4, null, s2, v4, vcc_lo
	global_load_dword v3, v[3:4], off
	v_mul_lo_u32 v4, 0x88, v2
	v_add3_u32 v4, 0, v4, v5
	s_waitcnt vmcnt(0)
	ds_write_b32 v4, v3
.LBB11_20:
	s_or_b32 exec_lo, exec_lo, s18
	v_cmp_gt_u32_e32 vcc_lo, 0x280, v0
	s_and_b32 exec_lo, exec_lo, vcc_lo
	;; [unrolled: 28-line block ×6, first 2 shown]
	s_cbranch_execz .LBB11_35
; %bb.33:
	v_or_b32_e32 v3, 0x80, v1
	v_mul_lo_u16 v1, 0xf1, v3
	v_lshrrev_b16 v4, 13, v1
	v_add_nc_u32_sdwa v1, v2, v4 dst_sel:DWORD dst_unused:UNUSED_PAD src0_sel:DWORD src1_sel:WORD_0
	v_cmp_gt_u32_e32 vcc_lo, 0x80, v1
	s_and_b32 exec_lo, exec_lo, vcc_lo
	s_cbranch_execz .LBB11_35
; %bb.34:
	v_mul_lo_u16 v2, v4, 34
	v_sub_nc_u16 v2, v3, v2
	v_and_b32_e32 v2, 0xff, v2
	v_mad_u64_u32 v[3:4], null, v1, s1, v[2:3]
	v_mul_lo_u32 v1, 0x88, v1
	v_lshlrev_b32_e32 v2, 2, v2
	v_ashrrev_i32_e32 v4, 31, v3
	v_add3_u32 v1, 0, v1, v2
	v_lshlrev_b64 v[3:4], 2, v[3:4]
	v_add_co_u32 v3, vcc_lo, s0, v3
	v_add_co_ci_u32_e64 v4, null, s2, v4, vcc_lo
	global_load_dword v3, v[3:4], off
	s_waitcnt vmcnt(0)
	ds_write_b32 v1, v3
.LBB11_35:
	s_or_b32 exec_lo, exec_lo, s7
	s_ashr_i32 s0, s3, 31
	s_mul_hi_u32 s1, s12, s3
	s_mul_i32 s0, s12, s0
	s_mul_i32 s2, s13, s3
	s_add_i32 s0, s1, s0
	s_mul_i32 s1, s12, s3
	s_add_i32 s0, s0, s2
	s_waitcnt lgkmcnt(0)
	s_add_u32 s1, s8, s1
	s_addc_u32 s0, s9, s0
	s_ashr_i32 s2, s3, 2
	v_mul_lo_u32 v1, s2, v0
	s_barrier
	buffer_gl0_inv
	v_lshlrev_b32_e32 v5, 2, v0
	s_cmp_eq_u64 s[10:11], 0
	v_ashrrev_i32_e32 v2, 31, v1
	v_lshlrev_b64 v[1:2], 2, v[1:2]
	v_add_co_u32 v1, vcc_lo, s1, v1
	v_add_co_ci_u32_e64 v2, null, s0, v2, vcc_lo
	global_load_dwordx3 v[1:3], v[1:2], off
	s_cbranch_scc1 .LBB11_37
; %bb.36:
	s_lshl_b64 s[0:1], s[12:13], 2
	s_add_u32 s0, s10, s0
	s_addc_u32 s1, s11, s1
	global_load_dword v8, v5, s[0:1]
	s_branch .LBB11_38
.LBB11_37:
	v_mov_b32_e32 v8, 0
.LBB11_38:
	s_load_dwordx2 s[0:1], s[4:5], 0x40
	s_waitcnt lgkmcnt(0)
	s_sub_u32 s8, s0, s14
	s_subb_u32 s9, s1, s15
	v_cmp_lt_i64_e64 s0, s[8:9], 1
	s_and_b32 vcc_lo, exec_lo, s0
	s_cbranch_vccnz .LBB11_41
; %bb.39:
	s_load_dwordx4 s[0:3], s[4:5], 0x30
	v_mad_u32_u24 v0, 0x88, v0, 0
	ds_read_b32 v4, v0
	s_waitcnt lgkmcnt(0)
	s_mul_i32 s2, s2, s6
	s_mul_hi_u32 s5, s14, s1
	s_ashr_i32 s3, s2, 31
	s_add_u32 s2, s16, s2
	s_addc_u32 s3, s17, s3
	s_ashr_i32 s4, s1, 31
	s_mul_i32 s6, s15, s1
	s_mul_i32 s4, s14, s4
	s_add_i32 s4, s5, s4
	s_mul_i32 s5, s14, s1
	s_add_i32 s4, s4, s6
	s_add_u32 s2, s2, s5
	s_addc_u32 s3, s3, s4
	s_ashr_i32 s4, s0, 31
	s_mul_hi_u32 s5, s12, s0
	s_mul_i32 s4, s12, s4
	s_mul_i32 s6, s13, s0
	s_add_i32 s4, s5, s4
	s_mul_i32 s0, s12, s0
	s_add_i32 s4, s4, s6
	s_add_u32 s0, s2, s0
	s_addc_u32 s4, s3, s4
	s_ashr_i32 s2, s1, 2
	v_cmp_lt_u64_e64 s1, s[8:9], 32
	v_add_co_u32 v6, s0, s0, v5
	v_add_co_ci_u32_e64 v7, null, s4, 0, s0
	s_ashr_i32 s3, s2, 31
	s_and_b32 s0, s1, exec_lo
	s_cselect_b32 s1, s9, 0
	s_cselect_b32 s0, s8, 32
	s_lshl_b64 s[2:3], s[2:3], 2
	.p2align	6
.LBB11_40:                              ; =>This Inner Loop Header: Depth=1
	s_waitcnt vmcnt(0)
	v_fma_f32 v9, v1, v4, 0
	ds_read2_b32 v[4:5], v0 offset0:1 offset1:2
	v_add_nc_u32_e32 v0, 4, v0
	s_add_u32 s0, s0, -1
	s_addc_u32 s1, s1, -1
	s_cmp_lg_u64 s[0:1], 0
	s_waitcnt lgkmcnt(0)
	v_fmac_f32_e32 v9, v2, v4
	v_fmac_f32_e32 v9, v3, v5
	v_add_f32_e32 v5, v8, v9
	global_store_dword v[6:7], v5, off
	v_add_co_u32 v6, vcc_lo, v6, s2
	v_add_co_ci_u32_e64 v7, null, s3, v7, vcc_lo
	s_cbranch_scc1 .LBB11_40
.LBB11_41:
	s_endpgm
	.section	.rodata,"a",@progbits
	.p2align	6, 0x0
	.amdhsa_kernel _ZL23ssm_conv_long_token_f32ILb0ELm128ELm3ELl32EEvPKfS1_S1_iiiiPfiiil
		.amdhsa_group_segment_fixed_size 0
		.amdhsa_private_segment_fixed_size 0
		.amdhsa_kernarg_size 72
		.amdhsa_user_sgpr_count 6
		.amdhsa_user_sgpr_private_segment_buffer 1
		.amdhsa_user_sgpr_dispatch_ptr 0
		.amdhsa_user_sgpr_queue_ptr 0
		.amdhsa_user_sgpr_kernarg_segment_ptr 1
		.amdhsa_user_sgpr_dispatch_id 0
		.amdhsa_user_sgpr_flat_scratch_init 0
		.amdhsa_user_sgpr_private_segment_size 0
		.amdhsa_wavefront_size32 1
		.amdhsa_uses_dynamic_stack 0
		.amdhsa_system_sgpr_private_segment_wavefront_offset 0
		.amdhsa_system_sgpr_workgroup_id_x 1
		.amdhsa_system_sgpr_workgroup_id_y 1
		.amdhsa_system_sgpr_workgroup_id_z 1
		.amdhsa_system_sgpr_workgroup_info 0
		.amdhsa_system_vgpr_workitem_id 0
		.amdhsa_next_free_vgpr 10
		.amdhsa_next_free_sgpr 19
		.amdhsa_reserve_vcc 1
		.amdhsa_reserve_flat_scratch 0
		.amdhsa_float_round_mode_32 0
		.amdhsa_float_round_mode_16_64 0
		.amdhsa_float_denorm_mode_32 3
		.amdhsa_float_denorm_mode_16_64 3
		.amdhsa_dx10_clamp 1
		.amdhsa_ieee_mode 1
		.amdhsa_fp16_overflow 0
		.amdhsa_workgroup_processor_mode 1
		.amdhsa_memory_ordered 1
		.amdhsa_forward_progress 1
		.amdhsa_shared_vgpr_count 0
		.amdhsa_exception_fp_ieee_invalid_op 0
		.amdhsa_exception_fp_denorm_src 0
		.amdhsa_exception_fp_ieee_div_zero 0
		.amdhsa_exception_fp_ieee_overflow 0
		.amdhsa_exception_fp_ieee_underflow 0
		.amdhsa_exception_fp_ieee_inexact 0
		.amdhsa_exception_int_div_zero 0
	.end_amdhsa_kernel
	.section	.text._ZL23ssm_conv_long_token_f32ILb0ELm128ELm3ELl32EEvPKfS1_S1_iiiiPfiiil,"axG",@progbits,_ZL23ssm_conv_long_token_f32ILb0ELm128ELm3ELl32EEvPKfS1_S1_iiiiPfiiil,comdat
.Lfunc_end11:
	.size	_ZL23ssm_conv_long_token_f32ILb0ELm128ELm3ELl32EEvPKfS1_S1_iiiiPfiiil, .Lfunc_end11-_ZL23ssm_conv_long_token_f32ILb0ELm128ELm3ELl32EEvPKfS1_S1_iiiiPfiiil
                                        ; -- End function
	.set _ZL23ssm_conv_long_token_f32ILb0ELm128ELm3ELl32EEvPKfS1_S1_iiiiPfiiil.num_vgpr, 10
	.set _ZL23ssm_conv_long_token_f32ILb0ELm128ELm3ELl32EEvPKfS1_S1_iiiiPfiiil.num_agpr, 0
	.set _ZL23ssm_conv_long_token_f32ILb0ELm128ELm3ELl32EEvPKfS1_S1_iiiiPfiiil.numbered_sgpr, 19
	.set _ZL23ssm_conv_long_token_f32ILb0ELm128ELm3ELl32EEvPKfS1_S1_iiiiPfiiil.num_named_barrier, 0
	.set _ZL23ssm_conv_long_token_f32ILb0ELm128ELm3ELl32EEvPKfS1_S1_iiiiPfiiil.private_seg_size, 0
	.set _ZL23ssm_conv_long_token_f32ILb0ELm128ELm3ELl32EEvPKfS1_S1_iiiiPfiiil.uses_vcc, 1
	.set _ZL23ssm_conv_long_token_f32ILb0ELm128ELm3ELl32EEvPKfS1_S1_iiiiPfiiil.uses_flat_scratch, 0
	.set _ZL23ssm_conv_long_token_f32ILb0ELm128ELm3ELl32EEvPKfS1_S1_iiiiPfiiil.has_dyn_sized_stack, 0
	.set _ZL23ssm_conv_long_token_f32ILb0ELm128ELm3ELl32EEvPKfS1_S1_iiiiPfiiil.has_recursion, 0
	.set _ZL23ssm_conv_long_token_f32ILb0ELm128ELm3ELl32EEvPKfS1_S1_iiiiPfiiil.has_indirect_call, 0
	.section	.AMDGPU.csdata,"",@progbits
; Kernel info:
; codeLenInByte = 5716
; TotalNumSgprs: 21
; NumVgprs: 10
; ScratchSize: 0
; MemoryBound: 0
; FloatMode: 240
; IeeeMode: 1
; LDSByteSize: 0 bytes/workgroup (compile time only)
; SGPRBlocks: 0
; VGPRBlocks: 1
; NumSGPRsForWavesPerEU: 21
; NumVGPRsForWavesPerEU: 10
; Occupancy: 16
; WaveLimiterHint : 0
; COMPUTE_PGM_RSRC2:SCRATCH_EN: 0
; COMPUTE_PGM_RSRC2:USER_SGPR: 6
; COMPUTE_PGM_RSRC2:TRAP_HANDLER: 0
; COMPUTE_PGM_RSRC2:TGID_X_EN: 1
; COMPUTE_PGM_RSRC2:TGID_Y_EN: 1
; COMPUTE_PGM_RSRC2:TGID_Z_EN: 1
; COMPUTE_PGM_RSRC2:TIDIG_COMP_CNT: 0
	.section	.text._ZL12ssm_conv_f32ILb0ELm128ELm4EEvPKfS1_S1_iiiiPfiiil,"axG",@progbits,_ZL12ssm_conv_f32ILb0ELm128ELm4EEvPKfS1_S1_iiiiPfiiil,comdat
	.globl	_ZL12ssm_conv_f32ILb0ELm128ELm4EEvPKfS1_S1_iiiiPfiiil ; -- Begin function _ZL12ssm_conv_f32ILb0ELm128ELm4EEvPKfS1_S1_iiiiPfiiil
	.p2align	8
	.type	_ZL12ssm_conv_f32ILb0ELm128ELm4EEvPKfS1_S1_iiiiPfiiil,@function
_ZL12ssm_conv_f32ILb0ELm128ELm4EEvPKfS1_S1_iiiiPfiiil: ; @_ZL12ssm_conv_f32ILb0ELm128ELm4EEvPKfS1_S1_iiiiPfiiil
; %bb.0:
	s_clause 0x2
	s_load_dwordx4 s[8:11], s[4:5], 0x1c
	s_load_dwordx4 s[0:3], s[4:5], 0x0
	s_load_dwordx2 s[12:13], s[4:5], 0x10
	s_mov_b32 s14, s7
	s_ashr_i32 s15, s7, 31
	v_lshlrev_b32_e32 v10, 2, v0
	s_lshl_b64 s[18:19], s[14:15], 7
	s_lshr_b64 s[14:15], s[14:15], 25
	s_waitcnt lgkmcnt(0)
	s_ashr_i32 s7, s10, 31
	s_mul_hi_u32 s11, s18, s10
	s_mul_i32 s7, s18, s7
	s_mul_i32 s14, s14, s10
	s_add_i32 s7, s11, s7
	s_mul_i32 s11, s18, s10
	s_add_i32 s14, s7, s14
	s_add_u32 s7, s2, s11
	s_addc_u32 s11, s3, s14
	s_cmp_eq_u64 s[12:13], 0
	s_cbranch_scc1 .LBB12_2
; %bb.1:
	s_lshl_b64 s[2:3], s[18:19], 2
	s_add_u32 s2, s12, s2
	s_addc_u32 s3, s13, s3
	global_load_dword v12, v10, s[2:3]
	s_load_dwordx2 s[2:3], s[4:5], 0x40
	s_waitcnt lgkmcnt(0)
	v_cmp_lt_i64_e64 s12, s[2:3], 1
	s_and_b32 vcc_lo, exec_lo, s12
	s_cbranch_vccz .LBB12_3
	s_branch .LBB12_6
.LBB12_2:
	v_mov_b32_e32 v12, 0
	s_load_dwordx2 s[2:3], s[4:5], 0x40
	s_waitcnt lgkmcnt(0)
	v_cmp_lt_i64_e64 s12, s[2:3], 1
	s_and_b32 vcc_lo, exec_lo, s12
	s_cbranch_vccnz .LBB12_6
.LBB12_3:
	s_clause 0x1
	s_load_dwordx4 s[12:15], s[4:5], 0x30
	s_load_dwordx2 s[16:17], s[4:5], 0x28
	s_ashr_i32 s4, s10, 2
	s_ashr_i32 s5, s8, 31
	s_mul_hi_u32 s10, s18, s8
	v_mul_lo_u32 v1, s4, v0
	s_mul_i32 s4, s18, s5
	s_mul_i32 s9, s9, s6
	;; [unrolled: 1-line block ×3, first 2 shown]
	s_add_i32 s4, s10, s4
	s_ashr_i32 s20, s9, 31
	s_waitcnt lgkmcnt(0)
	s_mul_i32 s15, s18, s8
	v_ashrrev_i32_e32 v2, 31, v1
	s_mul_i32 s10, s14, s6
	s_add_i32 s6, s4, s21
	s_ashr_i32 s14, s10, 31
	s_add_u32 s4, s16, s10
	s_addc_u32 s5, s17, s14
	s_ashr_i32 s21, s12, 31
	s_mul_hi_u32 s22, s18, s12
	s_mul_i32 s21, s18, s21
	s_mul_i32 s19, s19, s12
	s_add_i32 s21, s22, s21
	s_mul_i32 s12, s18, s12
	s_add_i32 s18, s21, s19
	s_add_u32 s4, s4, s12
	s_addc_u32 s5, s5, s18
	s_add_u32 s19, s0, s9
	s_addc_u32 s21, s1, s20
	;; [unrolled: 2-line block ×3, first 2 shown]
	s_ashr_i32 s8, s8, 2
	s_cmp_eq_u64 s[2:3], 1
	v_mul_lo_u32 v3, s8, v0
	v_lshlrev_b64 v[0:1], 2, v[1:2]
	v_add_co_u32 v0, vcc_lo, s7, v0
	v_ashrrev_i32_e32 v4, 31, v3
	v_add_co_ci_u32_e64 v1, null, s11, v1, vcc_lo
	v_lshlrev_b64 v[8:9], 2, v[3:4]
	v_add_co_u32 v4, vcc_lo, s19, v8
	v_add_co_ci_u32_e64 v5, null, s21, v9, vcc_lo
	global_load_dwordx4 v[0:3], v[0:1], off
	global_load_dwordx4 v[4:7], v[4:5], off
	s_waitcnt vmcnt(0)
	v_fma_f32 v11, v0, v4, 0
	v_fmac_f32_e32 v11, v1, v5
	v_fmac_f32_e32 v11, v2, v6
	;; [unrolled: 1-line block ×3, first 2 shown]
	v_add_f32_e32 v11, v12, v11
	global_store_dword v10, v11, s[4:5]
	s_cbranch_scc1 .LBB12_6
; %bb.4:
	s_ashr_i32 s22, s13, 2
	s_ashr_i32 s23, s22, 31
	s_add_u32 s4, s2, -1
	s_addc_u32 s5, s3, -1
	s_add_u32 s0, s0, s9
	s_addc_u32 s1, s1, s20
	s_add_u32 s0, s0, s15
	s_addc_u32 s1, s1, s6
	s_lshl_b64 s[6:7], s[22:23], 2
	v_add_co_u32 v8, vcc_lo, s0, v8
	s_add_u32 s0, s12, s6
	v_add_co_ci_u32_e64 v9, null, s1, v9, vcc_lo
	s_addc_u32 s1, s18, s7
	s_add_u32 s2, s16, s10
	s_addc_u32 s3, s17, s14
	s_add_u32 s0, s2, s0
	v_add_co_u32 v8, vcc_lo, v8, 16
	s_addc_u32 s1, s3, s1
	v_add_co_u32 v10, s0, s0, v10
	v_add_co_ci_u32_e64 v9, null, 0, v9, vcc_lo
	v_add_co_ci_u32_e64 v11, null, s1, 0, s0
	s_mov_b64 s[10:11], 0
.LBB12_5:                               ; =>This Inner Loop Header: Depth=1
	global_load_dword v13, v[8:9], off
	s_add_u32 s8, s10, 1
	s_addc_u32 s9, s11, 0
	s_add_i32 s0, s10, 4
	v_add_co_u32 v8, vcc_lo, v8, 4
	s_and_b32 s2, s0, 3
	v_add_co_ci_u32_e64 v9, null, 0, v9, vcc_lo
	s_cmp_eq_u32 s2, 3
	s_cselect_b32 vcc_lo, -1, 0
	s_cmp_eq_u32 s2, 2
	s_cselect_b32 s0, -1, 0
	s_cmp_eq_u32 s2, 1
	s_cselect_b32 s1, -1, 0
	;; [unrolled: 2-line block ×3, first 2 shown]
	s_and_b32 s3, s8, 3
	s_cmp_eq_u32 s3, 1
	s_waitcnt vmcnt(0)
	v_cndmask_b32_e64 v5, v5, v13, s1
	v_cndmask_b32_e64 v4, v4, v13, s2
	v_cndmask_b32_e32 v7, v7, v13, vcc_lo
	s_cselect_b32 vcc_lo, -1, 0
	v_cndmask_b32_e64 v6, v6, v13, s0
	s_cmp_eq_u32 s3, 2
	v_cndmask_b32_e32 v14, v4, v5, vcc_lo
	s_cselect_b32 vcc_lo, -1, 0
	s_cmp_eq_u32 s3, 3
	v_cndmask_b32_e32 v14, v14, v6, vcc_lo
	s_cselect_b32 vcc_lo, -1, 0
	s_add_i32 s0, s10, 2
	s_mov_b64 s[10:11], s[8:9]
	s_and_b32 s0, s0, 3
	v_cndmask_b32_e32 v14, v14, v7, vcc_lo
	s_cmp_eq_u32 s0, 1
	s_cselect_b32 vcc_lo, -1, 0
	s_cmp_eq_u32 s0, 2
	v_cndmask_b32_e32 v15, v4, v5, vcc_lo
	s_cselect_b32 vcc_lo, -1, 0
	s_cmp_eq_u32 s0, 3
	v_fma_f32 v14, v0, v14, 0
	v_cndmask_b32_e32 v15, v15, v6, vcc_lo
	s_cselect_b32 vcc_lo, -1, 0
	s_xor_b32 s1, s3, 2
	s_cmp_eq_u32 s1, 1
	v_cndmask_b32_e32 v15, v15, v7, vcc_lo
	s_cselect_b32 s0, -1, 0
	s_cmp_eq_u32 s1, 2
	v_cndmask_b32_e64 v16, v4, v5, s0
	s_cselect_b32 vcc_lo, -1, 0
	s_cmp_eq_u32 s1, 3
	v_fmac_f32_e32 v14, v1, v15
	v_cndmask_b32_e32 v16, v16, v6, vcc_lo
	s_cselect_b32 vcc_lo, -1, 0
	s_cmp_eq_u64 s[4:5], s[8:9]
	v_cndmask_b32_e32 v15, v16, v7, vcc_lo
	v_fmac_f32_e32 v14, v2, v15
	v_fmac_f32_e32 v14, v3, v13
	v_add_f32_e32 v13, v12, v14
	global_store_dword v[10:11], v13, off
	v_add_co_u32 v10, vcc_lo, v10, s6
	v_add_co_ci_u32_e64 v11, null, s7, v11, vcc_lo
	s_cbranch_scc0 .LBB12_5
.LBB12_6:
	s_endpgm
	.section	.rodata,"a",@progbits
	.p2align	6, 0x0
	.amdhsa_kernel _ZL12ssm_conv_f32ILb0ELm128ELm4EEvPKfS1_S1_iiiiPfiiil
		.amdhsa_group_segment_fixed_size 0
		.amdhsa_private_segment_fixed_size 0
		.amdhsa_kernarg_size 72
		.amdhsa_user_sgpr_count 6
		.amdhsa_user_sgpr_private_segment_buffer 1
		.amdhsa_user_sgpr_dispatch_ptr 0
		.amdhsa_user_sgpr_queue_ptr 0
		.amdhsa_user_sgpr_kernarg_segment_ptr 1
		.amdhsa_user_sgpr_dispatch_id 0
		.amdhsa_user_sgpr_flat_scratch_init 0
		.amdhsa_user_sgpr_private_segment_size 0
		.amdhsa_wavefront_size32 1
		.amdhsa_uses_dynamic_stack 0
		.amdhsa_system_sgpr_private_segment_wavefront_offset 0
		.amdhsa_system_sgpr_workgroup_id_x 1
		.amdhsa_system_sgpr_workgroup_id_y 1
		.amdhsa_system_sgpr_workgroup_id_z 0
		.amdhsa_system_sgpr_workgroup_info 0
		.amdhsa_system_vgpr_workitem_id 0
		.amdhsa_next_free_vgpr 17
		.amdhsa_next_free_sgpr 24
		.amdhsa_reserve_vcc 1
		.amdhsa_reserve_flat_scratch 0
		.amdhsa_float_round_mode_32 0
		.amdhsa_float_round_mode_16_64 0
		.amdhsa_float_denorm_mode_32 3
		.amdhsa_float_denorm_mode_16_64 3
		.amdhsa_dx10_clamp 1
		.amdhsa_ieee_mode 1
		.amdhsa_fp16_overflow 0
		.amdhsa_workgroup_processor_mode 1
		.amdhsa_memory_ordered 1
		.amdhsa_forward_progress 1
		.amdhsa_shared_vgpr_count 0
		.amdhsa_exception_fp_ieee_invalid_op 0
		.amdhsa_exception_fp_denorm_src 0
		.amdhsa_exception_fp_ieee_div_zero 0
		.amdhsa_exception_fp_ieee_overflow 0
		.amdhsa_exception_fp_ieee_underflow 0
		.amdhsa_exception_fp_ieee_inexact 0
		.amdhsa_exception_int_div_zero 0
	.end_amdhsa_kernel
	.section	.text._ZL12ssm_conv_f32ILb0ELm128ELm4EEvPKfS1_S1_iiiiPfiiil,"axG",@progbits,_ZL12ssm_conv_f32ILb0ELm128ELm4EEvPKfS1_S1_iiiiPfiiil,comdat
.Lfunc_end12:
	.size	_ZL12ssm_conv_f32ILb0ELm128ELm4EEvPKfS1_S1_iiiiPfiiil, .Lfunc_end12-_ZL12ssm_conv_f32ILb0ELm128ELm4EEvPKfS1_S1_iiiiPfiiil
                                        ; -- End function
	.set _ZL12ssm_conv_f32ILb0ELm128ELm4EEvPKfS1_S1_iiiiPfiiil.num_vgpr, 17
	.set _ZL12ssm_conv_f32ILb0ELm128ELm4EEvPKfS1_S1_iiiiPfiiil.num_agpr, 0
	.set _ZL12ssm_conv_f32ILb0ELm128ELm4EEvPKfS1_S1_iiiiPfiiil.numbered_sgpr, 24
	.set _ZL12ssm_conv_f32ILb0ELm128ELm4EEvPKfS1_S1_iiiiPfiiil.num_named_barrier, 0
	.set _ZL12ssm_conv_f32ILb0ELm128ELm4EEvPKfS1_S1_iiiiPfiiil.private_seg_size, 0
	.set _ZL12ssm_conv_f32ILb0ELm128ELm4EEvPKfS1_S1_iiiiPfiiil.uses_vcc, 1
	.set _ZL12ssm_conv_f32ILb0ELm128ELm4EEvPKfS1_S1_iiiiPfiiil.uses_flat_scratch, 0
	.set _ZL12ssm_conv_f32ILb0ELm128ELm4EEvPKfS1_S1_iiiiPfiiil.has_dyn_sized_stack, 0
	.set _ZL12ssm_conv_f32ILb0ELm128ELm4EEvPKfS1_S1_iiiiPfiiil.has_recursion, 0
	.set _ZL12ssm_conv_f32ILb0ELm128ELm4EEvPKfS1_S1_iiiiPfiiil.has_indirect_call, 0
	.section	.AMDGPU.csdata,"",@progbits
; Kernel info:
; codeLenInByte = 856
; TotalNumSgprs: 26
; NumVgprs: 17
; ScratchSize: 0
; MemoryBound: 0
; FloatMode: 240
; IeeeMode: 1
; LDSByteSize: 0 bytes/workgroup (compile time only)
; SGPRBlocks: 0
; VGPRBlocks: 2
; NumSGPRsForWavesPerEU: 26
; NumVGPRsForWavesPerEU: 17
; Occupancy: 16
; WaveLimiterHint : 0
; COMPUTE_PGM_RSRC2:SCRATCH_EN: 0
; COMPUTE_PGM_RSRC2:USER_SGPR: 6
; COMPUTE_PGM_RSRC2:TRAP_HANDLER: 0
; COMPUTE_PGM_RSRC2:TGID_X_EN: 1
; COMPUTE_PGM_RSRC2:TGID_Y_EN: 1
; COMPUTE_PGM_RSRC2:TGID_Z_EN: 0
; COMPUTE_PGM_RSRC2:TIDIG_COMP_CNT: 0
	.section	.text._ZL23ssm_conv_long_token_f32ILb0ELm128ELm4ELl32EEvPKfS1_S1_iiiiPfiiil,"axG",@progbits,_ZL23ssm_conv_long_token_f32ILb0ELm128ELm4ELl32EEvPKfS1_S1_iiiiPfiiil,comdat
	.globl	_ZL23ssm_conv_long_token_f32ILb0ELm128ELm4ELl32EEvPKfS1_S1_iiiiPfiiil ; -- Begin function _ZL23ssm_conv_long_token_f32ILb0ELm128ELm4ELl32EEvPKfS1_S1_iiiiPfiiil
	.p2align	8
	.type	_ZL23ssm_conv_long_token_f32ILb0ELm128ELm4ELl32EEvPKfS1_S1_iiiiPfiiil,@function
_ZL23ssm_conv_long_token_f32ILb0ELm128ELm4ELl32EEvPKfS1_S1_iiiiPfiiil: ; @_ZL23ssm_conv_long_token_f32ILb0ELm128ELm4ELl32EEvPKfS1_S1_iiiiPfiiil
; %bb.0:
	s_clause 0x1
	s_load_dwordx2 s[12:13], s[4:5], 0x0
	s_load_dwordx4 s[0:3], s[4:5], 0x18
	s_mov_b32 s10, s7
	v_mul_u32_u24_e32 v1, 0x751, v0
	v_lshrrev_b32_e32 v4, 16, v1
	v_mul_lo_u16 v1, v4, 35
	v_sub_nc_u16 v5, v0, v1
	s_waitcnt lgkmcnt(0)
	s_mul_i32 s2, s2, s6
	v_and_b32_e32 v1, 0xffff, v5
	s_ashr_i32 s7, s2, 31
	s_add_u32 s2, s12, s2
	s_addc_u32 s7, s13, s7
	s_ashr_i32 s11, s10, 31
	s_ashr_i32 s9, s1, 31
	s_lshl_b64 s[12:13], s[10:11], 7
	s_lshr_b64 s[10:11], s[10:11], 25
	s_mul_i32 s9, s12, s9
	s_mul_hi_u32 s14, s12, s1
	s_mul_i32 s10, s10, s1
	s_add_i32 s9, s14, s9
	s_add_i32 s9, s9, s10
	s_mul_i32 s10, s12, s1
	s_add_u32 s2, s2, s10
	s_addc_u32 s7, s7, s9
	s_ashr_i32 s9, s8, 31
	s_ashr_i32 s10, s0, 31
	s_lshl_b64 s[14:15], s[8:9], 5
	s_lshr_b64 s[8:9], s[8:9], 27
	s_mul_i32 s10, s14, s10
	s_mul_hi_u32 s11, s14, s0
	s_mul_i32 s8, s8, s0
	s_add_i32 s10, s11, s10
	s_mul_i32 s0, s14, s0
	s_add_i32 s10, s10, s8
	s_add_u32 s0, s2, s0
	s_addc_u32 s2, s7, s10
	s_ashr_i32 s1, s1, 2
	s_mov_b32 s7, exec_lo
	v_mad_u64_u32 v[2:3], null, s1, v4, v[1:2]
	v_lshlrev_b32_e32 v1, 2, v1
	v_ashrrev_i32_e32 v3, 31, v2
	v_lshlrev_b64 v[2:3], 2, v[2:3]
	v_add_co_u32 v2, vcc_lo, s0, v2
	v_add_co_ci_u32_e64 v3, null, s2, v3, vcc_lo
	global_load_dword v2, v[2:3], off
	v_mul_u32_u24_e32 v3, 0x8c, v4
	v_add3_u32 v1, 0, v3, v1
	s_waitcnt vmcnt(0)
	ds_write_b32 v1, v2
	v_or_b32_e32 v1, 0x80, v5
	v_mul_lo_u16 v2, 0xeb, v1
	v_lshrrev_b16 v2, 13, v2
	v_add_nc_u32_sdwa v4, v4, v2 dst_sel:DWORD dst_unused:UNUSED_PAD src0_sel:DWORD src1_sel:WORD_0
	v_mul_lo_u16 v2, v2, 35
	v_sub_nc_u16 v1, v1, v2
	v_and_b32_e32 v1, 0xff, v1
	v_mad_u64_u32 v[2:3], null, v4, s1, v[1:2]
	v_lshlrev_b32_e32 v5, 2, v1
	v_or_b32_e32 v1, 0x80, v1
	v_ashrrev_i32_e32 v3, 31, v2
	v_lshlrev_b64 v[2:3], 2, v[2:3]
	v_add_co_u32 v2, vcc_lo, s0, v2
	v_add_co_ci_u32_e64 v3, null, s2, v3, vcc_lo
	global_load_dword v2, v[2:3], off
	v_mul_u32_u24_e32 v3, 0x8c, v4
	v_add3_u32 v3, 0, v3, v5
	s_waitcnt vmcnt(0)
	ds_write_b32 v3, v2
	v_mul_lo_u16 v2, 0xeb, v1
	v_lshrrev_b16 v2, 13, v2
	v_add_nc_u32_sdwa v4, v4, v2 dst_sel:DWORD dst_unused:UNUSED_PAD src0_sel:DWORD src1_sel:WORD_0
	v_mul_lo_u16 v2, v2, 35
	v_sub_nc_u16 v1, v1, v2
	v_and_b32_e32 v1, 0xff, v1
	v_mad_u64_u32 v[2:3], null, v4, s1, v[1:2]
	v_lshlrev_b32_e32 v5, 2, v1
	v_or_b32_e32 v1, 0x80, v1
	v_ashrrev_i32_e32 v3, 31, v2
	v_lshlrev_b64 v[2:3], 2, v[2:3]
	v_add_co_u32 v2, vcc_lo, s0, v2
	v_add_co_ci_u32_e64 v3, null, s2, v3, vcc_lo
	global_load_dword v2, v[2:3], off
	v_mul_u32_u24_e32 v3, 0x8c, v4
	v_add3_u32 v3, 0, v3, v5
	s_waitcnt vmcnt(0)
	ds_write_b32 v3, v2
	;; [unrolled: 18-line block ×5, first 2 shown]
	v_mul_lo_u16 v2, 0xeb, v1
	v_lshrrev_b16 v2, 13, v2
	v_add_nc_u32_sdwa v4, v4, v2 dst_sel:DWORD dst_unused:UNUSED_PAD src0_sel:DWORD src1_sel:WORD_0
	v_mul_lo_u16 v2, v2, 35
	v_sub_nc_u16 v1, v1, v2
	v_and_b32_e32 v1, 0xff, v1
	v_mad_u64_u32 v[2:3], null, v4, s1, v[1:2]
	v_lshlrev_b32_e32 v5, 2, v1
	v_or_b32_e32 v1, 0x80, v1
	v_ashrrev_i32_e32 v3, 31, v2
	v_lshlrev_b64 v[2:3], 2, v[2:3]
	v_add_co_u32 v2, vcc_lo, s0, v2
	v_add_co_ci_u32_e64 v3, null, s2, v3, vcc_lo
	global_load_dword v2, v[2:3], off
	v_mul_lo_u32 v3, 0x8c, v4
	v_add3_u32 v3, 0, v3, v5
	s_waitcnt vmcnt(0)
	ds_write_b32 v3, v2
	v_mul_lo_u16 v2, 0xeb, v1
	v_lshrrev_b16 v2, 13, v2
	v_add_nc_u32_sdwa v4, v4, v2 dst_sel:DWORD dst_unused:UNUSED_PAD src0_sel:DWORD src1_sel:WORD_0
	v_mul_lo_u16 v2, v2, 35
	v_sub_nc_u16 v1, v1, v2
	v_and_b32_e32 v1, 0xff, v1
	v_mad_u64_u32 v[2:3], null, v4, s1, v[1:2]
	v_lshlrev_b32_e32 v5, 2, v1
	v_or_b32_e32 v1, 0x80, v1
	v_ashrrev_i32_e32 v3, 31, v2
	v_lshlrev_b64 v[2:3], 2, v[2:3]
	v_add_co_u32 v2, vcc_lo, s0, v2
	v_add_co_ci_u32_e64 v3, null, s2, v3, vcc_lo
	global_load_dword v2, v[2:3], off
	v_mul_lo_u32 v3, 0x8c, v4
	v_add3_u32 v3, 0, v3, v5
	s_waitcnt vmcnt(0)
	ds_write_b32 v3, v2
	;; [unrolled: 18-line block ×14, first 2 shown]
	v_mul_lo_u16 v2, 0xeb, v1
	v_lshrrev_b16 v3, 13, v2
	v_add_nc_u32_sdwa v2, v4, v3 dst_sel:DWORD dst_unused:UNUSED_PAD src0_sel:DWORD src1_sel:WORD_0
	v_mul_lo_u16 v3, v3, 35
	v_sub_nc_u16 v1, v1, v3
	v_and_b32_e32 v1, 0xff, v1
	v_cmpx_gt_u32_e32 0x80, v2
	s_cbranch_execz .LBB13_2
; %bb.1:
	v_mad_u64_u32 v[3:4], null, v2, s1, v[1:2]
	v_lshlrev_b32_e32 v5, 2, v1
	v_ashrrev_i32_e32 v4, 31, v3
	v_lshlrev_b64 v[3:4], 2, v[3:4]
	v_add_co_u32 v3, vcc_lo, s0, v3
	v_add_co_ci_u32_e64 v4, null, s2, v4, vcc_lo
	global_load_dword v3, v[3:4], off
	v_mul_lo_u32 v4, 0x8c, v2
	v_add3_u32 v4, 0, v4, v5
	s_waitcnt vmcnt(0)
	ds_write_b32 v4, v3
.LBB13_2:
	s_or_b32 exec_lo, exec_lo, s7
	v_or_b32_e32 v1, 0x80, v1
	s_mov_b32 s7, exec_lo
	v_mul_lo_u16 v3, 0xeb, v1
	v_lshrrev_b16 v3, 13, v3
	v_mul_lo_u16 v4, v3, 35
	v_add_nc_u32_sdwa v2, v2, v3 dst_sel:DWORD dst_unused:UNUSED_PAD src0_sel:DWORD src1_sel:WORD_0
	v_sub_nc_u16 v1, v1, v4
	v_and_b32_e32 v1, 0xff, v1
	v_cmpx_gt_u32_e32 0x80, v2
	s_cbranch_execz .LBB13_4
; %bb.3:
	v_mad_u64_u32 v[3:4], null, v2, s1, v[1:2]
	v_lshlrev_b32_e32 v5, 2, v1
	v_ashrrev_i32_e32 v4, 31, v3
	v_lshlrev_b64 v[3:4], 2, v[3:4]
	v_add_co_u32 v3, vcc_lo, s0, v3
	v_add_co_ci_u32_e64 v4, null, s2, v4, vcc_lo
	global_load_dword v3, v[3:4], off
	v_mul_lo_u32 v4, 0x8c, v2
	v_add3_u32 v4, 0, v4, v5
	s_waitcnt vmcnt(0)
	ds_write_b32 v4, v3
.LBB13_4:
	s_or_b32 exec_lo, exec_lo, s7
	v_or_b32_e32 v1, 0x80, v1
	s_mov_b32 s7, exec_lo
	v_mul_lo_u16 v3, 0xeb, v1
	v_lshrrev_b16 v3, 13, v3
	v_mul_lo_u16 v4, v3, 35
	v_add_nc_u32_sdwa v2, v2, v3 dst_sel:DWORD dst_unused:UNUSED_PAD src0_sel:DWORD src1_sel:WORD_0
	;; [unrolled: 24-line block ×7, first 2 shown]
	v_sub_nc_u16 v1, v1, v4
	v_and_b32_e32 v1, 0xff, v1
	v_cmpx_gt_u32_e32 0x80, v2
	s_cbranch_execz .LBB13_16
; %bb.15:
	v_mad_u64_u32 v[3:4], null, v2, s1, v[1:2]
	v_lshlrev_b32_e32 v5, 2, v1
	v_ashrrev_i32_e32 v4, 31, v3
	v_lshlrev_b64 v[3:4], 2, v[3:4]
	v_add_co_u32 v3, vcc_lo, s0, v3
	v_add_co_ci_u32_e64 v4, null, s2, v4, vcc_lo
	global_load_dword v3, v[3:4], off
	v_mul_lo_u32 v4, 0x8c, v2
	v_add3_u32 v4, 0, v4, v5
	s_waitcnt vmcnt(0)
	ds_write_b32 v4, v3
.LBB13_16:
	s_or_b32 exec_lo, exec_lo, s7
	s_clause 0x1
	s_load_dwordx4 s[8:11], s[4:5], 0x8
	s_load_dwordx2 s[16:17], s[4:5], 0x28
	s_mov_b32 s7, exec_lo
	v_cmpx_gt_u32_e32 0x380, v0
	s_cbranch_execz .LBB13_37
; %bb.17:
	v_or_b32_e32 v1, 0x80, v1
	s_mov_b32 s18, exec_lo
	v_mul_lo_u16 v3, 0xeb, v1
	v_lshrrev_b16 v3, 13, v3
	v_mul_lo_u16 v4, v3, 35
	v_add_nc_u32_sdwa v2, v2, v3 dst_sel:DWORD dst_unused:UNUSED_PAD src0_sel:DWORD src1_sel:WORD_0
	v_sub_nc_u16 v1, v1, v4
	v_and_b32_e32 v1, 0xff, v1
	v_cmpx_gt_u32_e32 0x80, v2
	s_cbranch_execz .LBB13_19
; %bb.18:
	v_mad_u64_u32 v[3:4], null, v2, s1, v[1:2]
	v_lshlrev_b32_e32 v5, 2, v1
	v_ashrrev_i32_e32 v4, 31, v3
	v_lshlrev_b64 v[3:4], 2, v[3:4]
	v_add_co_u32 v3, vcc_lo, s0, v3
	v_add_co_ci_u32_e64 v4, null, s2, v4, vcc_lo
	global_load_dword v3, v[3:4], off
	v_mul_lo_u32 v4, 0x8c, v2
	v_add3_u32 v4, 0, v4, v5
	s_waitcnt vmcnt(0)
	ds_write_b32 v4, v3
.LBB13_19:
	s_or_b32 exec_lo, exec_lo, s18
	v_cmp_gt_u32_e32 vcc_lo, 0x300, v0
	s_and_b32 exec_lo, exec_lo, vcc_lo
	s_cbranch_execz .LBB13_37
; %bb.20:
	v_or_b32_e32 v1, 0x80, v1
	s_mov_b32 s18, exec_lo
	v_mul_lo_u16 v3, 0xeb, v1
	v_lshrrev_b16 v3, 13, v3
	v_mul_lo_u16 v4, v3, 35
	v_add_nc_u32_sdwa v2, v2, v3 dst_sel:DWORD dst_unused:UNUSED_PAD src0_sel:DWORD src1_sel:WORD_0
	v_sub_nc_u16 v1, v1, v4
	v_and_b32_e32 v1, 0xff, v1
	v_cmpx_gt_u32_e32 0x80, v2
	s_cbranch_execz .LBB13_22
; %bb.21:
	v_mad_u64_u32 v[3:4], null, v2, s1, v[1:2]
	v_lshlrev_b32_e32 v5, 2, v1
	v_ashrrev_i32_e32 v4, 31, v3
	v_lshlrev_b64 v[3:4], 2, v[3:4]
	v_add_co_u32 v3, vcc_lo, s0, v3
	v_add_co_ci_u32_e64 v4, null, s2, v4, vcc_lo
	global_load_dword v3, v[3:4], off
	v_mul_lo_u32 v4, 0x8c, v2
	v_add3_u32 v4, 0, v4, v5
	s_waitcnt vmcnt(0)
	ds_write_b32 v4, v3
.LBB13_22:
	s_or_b32 exec_lo, exec_lo, s18
	v_cmp_gt_u32_e32 vcc_lo, 0x280, v0
	s_and_b32 exec_lo, exec_lo, vcc_lo
	;; [unrolled: 28-line block ×6, first 2 shown]
	s_cbranch_execz .LBB13_37
; %bb.35:
	v_or_b32_e32 v3, 0x80, v1
	v_mul_lo_u16 v1, 0xeb, v3
	v_lshrrev_b16 v4, 13, v1
	v_add_nc_u32_sdwa v1, v2, v4 dst_sel:DWORD dst_unused:UNUSED_PAD src0_sel:DWORD src1_sel:WORD_0
	v_cmp_gt_u32_e32 vcc_lo, 0x80, v1
	s_and_b32 exec_lo, exec_lo, vcc_lo
	s_cbranch_execz .LBB13_37
; %bb.36:
	v_mul_lo_u16 v2, v4, 35
	v_sub_nc_u16 v2, v3, v2
	v_and_b32_e32 v2, 0xff, v2
	v_mad_u64_u32 v[3:4], null, v1, s1, v[2:3]
	v_mul_lo_u32 v1, 0x8c, v1
	v_lshlrev_b32_e32 v2, 2, v2
	v_ashrrev_i32_e32 v4, 31, v3
	v_add3_u32 v1, 0, v1, v2
	v_lshlrev_b64 v[3:4], 2, v[3:4]
	v_add_co_u32 v3, vcc_lo, s0, v3
	v_add_co_ci_u32_e64 v4, null, s2, v4, vcc_lo
	global_load_dword v3, v[3:4], off
	s_waitcnt vmcnt(0)
	ds_write_b32 v1, v3
.LBB13_37:
	s_or_b32 exec_lo, exec_lo, s7
	s_ashr_i32 s0, s3, 31
	s_mul_hi_u32 s1, s12, s3
	s_mul_i32 s0, s12, s0
	s_mul_i32 s2, s13, s3
	s_add_i32 s0, s1, s0
	s_mul_i32 s1, s12, s3
	s_add_i32 s0, s0, s2
	s_waitcnt lgkmcnt(0)
	s_add_u32 s1, s8, s1
	s_addc_u32 s0, s9, s0
	s_ashr_i32 s2, s3, 2
	v_mul_lo_u32 v1, s2, v0
	s_barrier
	buffer_gl0_inv
	v_lshlrev_b32_e32 v6, 2, v0
	s_cmp_eq_u64 s[10:11], 0
	v_ashrrev_i32_e32 v2, 31, v1
	v_lshlrev_b64 v[1:2], 2, v[1:2]
	v_add_co_u32 v1, vcc_lo, s1, v1
	v_add_co_ci_u32_e64 v2, null, s0, v2, vcc_lo
	global_load_dwordx4 v[1:4], v[1:2], off
	s_cbranch_scc1 .LBB13_39
; %bb.38:
	s_lshl_b64 s[0:1], s[12:13], 2
	s_add_u32 s0, s10, s0
	s_addc_u32 s1, s11, s1
	global_load_dword v9, v6, s[0:1]
	s_branch .LBB13_40
.LBB13_39:
	v_mov_b32_e32 v9, 0
.LBB13_40:
	s_load_dwordx2 s[0:1], s[4:5], 0x40
	s_waitcnt lgkmcnt(0)
	s_sub_u32 s8, s0, s14
	s_subb_u32 s9, s1, s15
	v_cmp_lt_i64_e64 s0, s[8:9], 1
	s_and_b32 vcc_lo, exec_lo, s0
	s_cbranch_vccnz .LBB13_43
; %bb.41:
	s_load_dwordx4 s[0:3], s[4:5], 0x30
	v_mad_u32_u24 v0, 0x8c, v0, 0
	ds_read_b32 v5, v0
	s_waitcnt lgkmcnt(0)
	s_mul_i32 s2, s2, s6
	s_mul_hi_u32 s5, s14, s1
	s_ashr_i32 s3, s2, 31
	s_add_u32 s2, s16, s2
	s_addc_u32 s3, s17, s3
	s_ashr_i32 s4, s1, 31
	s_mul_i32 s6, s15, s1
	s_mul_i32 s4, s14, s4
	s_add_i32 s4, s5, s4
	s_mul_i32 s5, s14, s1
	s_add_i32 s4, s4, s6
	s_add_u32 s2, s2, s5
	s_addc_u32 s3, s3, s4
	s_ashr_i32 s4, s0, 31
	s_mul_hi_u32 s5, s12, s0
	s_mul_i32 s4, s12, s4
	s_mul_i32 s6, s13, s0
	s_add_i32 s4, s5, s4
	s_mul_i32 s0, s12, s0
	s_add_i32 s4, s4, s6
	s_add_u32 s0, s2, s0
	s_addc_u32 s4, s3, s4
	s_ashr_i32 s2, s1, 2
	v_cmp_lt_u64_e64 s1, s[8:9], 32
	v_add_co_u32 v7, s0, s0, v6
	v_add_co_ci_u32_e64 v8, null, s4, 0, s0
	s_ashr_i32 s3, s2, 31
	s_and_b32 s0, s1, exec_lo
	s_cselect_b32 s1, s9, 0
	s_cselect_b32 s0, s8, 32
	s_lshl_b64 s[2:3], s[2:3], 2
	.p2align	6
.LBB13_42:                              ; =>This Inner Loop Header: Depth=1
	s_waitcnt vmcnt(0)
	v_fma_f32 v10, v1, v5, 0
	ds_read2_b32 v[5:6], v0 offset0:1 offset1:2
	ds_read_b32 v11, v0 offset:12
	v_add_nc_u32_e32 v0, 4, v0
	s_add_u32 s0, s0, -1
	s_addc_u32 s1, s1, -1
	s_cmp_lg_u64 s[0:1], 0
	s_waitcnt lgkmcnt(1)
	v_fmac_f32_e32 v10, v2, v5
	v_fmac_f32_e32 v10, v3, v6
	s_waitcnt lgkmcnt(0)
	v_fmac_f32_e32 v10, v4, v11
	v_add_f32_e32 v6, v9, v10
	global_store_dword v[7:8], v6, off
	v_add_co_u32 v7, vcc_lo, v7, s2
	v_add_co_ci_u32_e64 v8, null, s3, v8, vcc_lo
	s_cbranch_scc1 .LBB13_42
.LBB13_43:
	s_endpgm
	.section	.rodata,"a",@progbits
	.p2align	6, 0x0
	.amdhsa_kernel _ZL23ssm_conv_long_token_f32ILb0ELm128ELm4ELl32EEvPKfS1_S1_iiiiPfiiil
		.amdhsa_group_segment_fixed_size 0
		.amdhsa_private_segment_fixed_size 0
		.amdhsa_kernarg_size 72
		.amdhsa_user_sgpr_count 6
		.amdhsa_user_sgpr_private_segment_buffer 1
		.amdhsa_user_sgpr_dispatch_ptr 0
		.amdhsa_user_sgpr_queue_ptr 0
		.amdhsa_user_sgpr_kernarg_segment_ptr 1
		.amdhsa_user_sgpr_dispatch_id 0
		.amdhsa_user_sgpr_flat_scratch_init 0
		.amdhsa_user_sgpr_private_segment_size 0
		.amdhsa_wavefront_size32 1
		.amdhsa_uses_dynamic_stack 0
		.amdhsa_system_sgpr_private_segment_wavefront_offset 0
		.amdhsa_system_sgpr_workgroup_id_x 1
		.amdhsa_system_sgpr_workgroup_id_y 1
		.amdhsa_system_sgpr_workgroup_id_z 1
		.amdhsa_system_sgpr_workgroup_info 0
		.amdhsa_system_vgpr_workitem_id 0
		.amdhsa_next_free_vgpr 12
		.amdhsa_next_free_sgpr 19
		.amdhsa_reserve_vcc 1
		.amdhsa_reserve_flat_scratch 0
		.amdhsa_float_round_mode_32 0
		.amdhsa_float_round_mode_16_64 0
		.amdhsa_float_denorm_mode_32 3
		.amdhsa_float_denorm_mode_16_64 3
		.amdhsa_dx10_clamp 1
		.amdhsa_ieee_mode 1
		.amdhsa_fp16_overflow 0
		.amdhsa_workgroup_processor_mode 1
		.amdhsa_memory_ordered 1
		.amdhsa_forward_progress 1
		.amdhsa_shared_vgpr_count 0
		.amdhsa_exception_fp_ieee_invalid_op 0
		.amdhsa_exception_fp_denorm_src 0
		.amdhsa_exception_fp_ieee_div_zero 0
		.amdhsa_exception_fp_ieee_overflow 0
		.amdhsa_exception_fp_ieee_underflow 0
		.amdhsa_exception_fp_ieee_inexact 0
		.amdhsa_exception_int_div_zero 0
	.end_amdhsa_kernel
	.section	.text._ZL23ssm_conv_long_token_f32ILb0ELm128ELm4ELl32EEvPKfS1_S1_iiiiPfiiil,"axG",@progbits,_ZL23ssm_conv_long_token_f32ILb0ELm128ELm4ELl32EEvPKfS1_S1_iiiiPfiiil,comdat
.Lfunc_end13:
	.size	_ZL23ssm_conv_long_token_f32ILb0ELm128ELm4ELl32EEvPKfS1_S1_iiiiPfiiil, .Lfunc_end13-_ZL23ssm_conv_long_token_f32ILb0ELm128ELm4ELl32EEvPKfS1_S1_iiiiPfiiil
                                        ; -- End function
	.set _ZL23ssm_conv_long_token_f32ILb0ELm128ELm4ELl32EEvPKfS1_S1_iiiiPfiiil.num_vgpr, 12
	.set _ZL23ssm_conv_long_token_f32ILb0ELm128ELm4ELl32EEvPKfS1_S1_iiiiPfiiil.num_agpr, 0
	.set _ZL23ssm_conv_long_token_f32ILb0ELm128ELm4ELl32EEvPKfS1_S1_iiiiPfiiil.numbered_sgpr, 19
	.set _ZL23ssm_conv_long_token_f32ILb0ELm128ELm4ELl32EEvPKfS1_S1_iiiiPfiiil.num_named_barrier, 0
	.set _ZL23ssm_conv_long_token_f32ILb0ELm128ELm4ELl32EEvPKfS1_S1_iiiiPfiiil.private_seg_size, 0
	.set _ZL23ssm_conv_long_token_f32ILb0ELm128ELm4ELl32EEvPKfS1_S1_iiiiPfiiil.uses_vcc, 1
	.set _ZL23ssm_conv_long_token_f32ILb0ELm128ELm4ELl32EEvPKfS1_S1_iiiiPfiiil.uses_flat_scratch, 0
	.set _ZL23ssm_conv_long_token_f32ILb0ELm128ELm4ELl32EEvPKfS1_S1_iiiiPfiiil.has_dyn_sized_stack, 0
	.set _ZL23ssm_conv_long_token_f32ILb0ELm128ELm4ELl32EEvPKfS1_S1_iiiiPfiiil.has_recursion, 0
	.set _ZL23ssm_conv_long_token_f32ILb0ELm128ELm4ELl32EEvPKfS1_S1_iiiiPfiiil.has_indirect_call, 0
	.section	.AMDGPU.csdata,"",@progbits
; Kernel info:
; codeLenInByte = 5924
; TotalNumSgprs: 21
; NumVgprs: 12
; ScratchSize: 0
; MemoryBound: 0
; FloatMode: 240
; IeeeMode: 1
; LDSByteSize: 0 bytes/workgroup (compile time only)
; SGPRBlocks: 0
; VGPRBlocks: 1
; NumSGPRsForWavesPerEU: 21
; NumVGPRsForWavesPerEU: 12
; Occupancy: 16
; WaveLimiterHint : 0
; COMPUTE_PGM_RSRC2:SCRATCH_EN: 0
; COMPUTE_PGM_RSRC2:USER_SGPR: 6
; COMPUTE_PGM_RSRC2:TRAP_HANDLER: 0
; COMPUTE_PGM_RSRC2:TGID_X_EN: 1
; COMPUTE_PGM_RSRC2:TGID_Y_EN: 1
; COMPUTE_PGM_RSRC2:TGID_Z_EN: 1
; COMPUTE_PGM_RSRC2:TIDIG_COMP_CNT: 0
	.section	.text._ZL12ssm_conv_f32ILb0ELm128ELm5EEvPKfS1_S1_iiiiPfiiil,"axG",@progbits,_ZL12ssm_conv_f32ILb0ELm128ELm5EEvPKfS1_S1_iiiiPfiiil,comdat
	.globl	_ZL12ssm_conv_f32ILb0ELm128ELm5EEvPKfS1_S1_iiiiPfiiil ; -- Begin function _ZL12ssm_conv_f32ILb0ELm128ELm5EEvPKfS1_S1_iiiiPfiiil
	.p2align	8
	.type	_ZL12ssm_conv_f32ILb0ELm128ELm5EEvPKfS1_S1_iiiiPfiiil,@function
_ZL12ssm_conv_f32ILb0ELm128ELm5EEvPKfS1_S1_iiiiPfiiil: ; @_ZL12ssm_conv_f32ILb0ELm128ELm5EEvPKfS1_S1_iiiiPfiiil
; %bb.0:
	s_clause 0x2
	s_load_dwordx4 s[8:11], s[4:5], 0x1c
	s_load_dwordx4 s[0:3], s[4:5], 0x0
	s_load_dwordx2 s[12:13], s[4:5], 0x10
	s_mov_b32 s14, s7
	s_ashr_i32 s15, s7, 31
	v_lshlrev_b32_e32 v10, 2, v0
	s_lshl_b64 s[18:19], s[14:15], 7
	s_lshr_b64 s[14:15], s[14:15], 25
	s_waitcnt lgkmcnt(0)
	s_ashr_i32 s7, s10, 31
	s_mul_hi_u32 s11, s18, s10
	s_mul_i32 s7, s18, s7
	s_mul_i32 s14, s14, s10
	s_add_i32 s7, s11, s7
	s_mul_i32 s11, s18, s10
	s_add_i32 s14, s7, s14
	s_add_u32 s7, s2, s11
	s_addc_u32 s11, s3, s14
	s_cmp_eq_u64 s[12:13], 0
	s_cbranch_scc1 .LBB14_2
; %bb.1:
	s_lshl_b64 s[2:3], s[18:19], 2
	s_add_u32 s2, s12, s2
	s_addc_u32 s3, s13, s3
	global_load_dword v12, v10, s[2:3]
	s_load_dwordx2 s[2:3], s[4:5], 0x40
	s_waitcnt lgkmcnt(0)
	v_cmp_lt_i64_e64 s12, s[2:3], 1
	s_and_b32 vcc_lo, exec_lo, s12
	s_cbranch_vccz .LBB14_3
	s_branch .LBB14_6
.LBB14_2:
	v_mov_b32_e32 v12, 0
	s_load_dwordx2 s[2:3], s[4:5], 0x40
	s_waitcnt lgkmcnt(0)
	v_cmp_lt_i64_e64 s12, s[2:3], 1
	s_and_b32 vcc_lo, exec_lo, s12
	s_cbranch_vccnz .LBB14_6
.LBB14_3:
	s_clause 0x1
	s_load_dwordx4 s[12:15], s[4:5], 0x30
	s_load_dwordx2 s[16:17], s[4:5], 0x28
	s_ashr_i32 s4, s10, 2
	s_ashr_i32 s5, s8, 31
	s_mul_hi_u32 s10, s18, s8
	v_mul_lo_u32 v1, s4, v0
	s_mul_i32 s4, s18, s5
	s_mul_i32 s9, s9, s6
	;; [unrolled: 1-line block ×3, first 2 shown]
	s_add_i32 s4, s10, s4
	s_ashr_i32 s20, s9, 31
	s_waitcnt lgkmcnt(0)
	s_mul_i32 s15, s18, s8
	v_ashrrev_i32_e32 v2, 31, v1
	s_mul_i32 s10, s14, s6
	s_add_i32 s6, s4, s21
	s_ashr_i32 s14, s10, 31
	s_add_u32 s4, s16, s10
	s_addc_u32 s5, s17, s14
	s_ashr_i32 s21, s12, 31
	s_mul_hi_u32 s22, s18, s12
	s_mul_i32 s21, s18, s21
	s_mul_i32 s19, s19, s12
	s_add_i32 s21, s22, s21
	s_mul_i32 s12, s18, s12
	s_add_i32 s18, s21, s19
	s_add_u32 s4, s4, s12
	s_addc_u32 s5, s5, s18
	s_add_u32 s19, s0, s9
	s_addc_u32 s21, s1, s20
	;; [unrolled: 2-line block ×3, first 2 shown]
	s_ashr_i32 s8, s8, 2
	s_cmp_eq_u64 s[2:3], 1
	v_mul_lo_u32 v3, s8, v0
	v_lshlrev_b64 v[0:1], 2, v[1:2]
	v_add_co_u32 v14, vcc_lo, s7, v0
	v_ashrrev_i32_e32 v4, 31, v3
	v_add_co_ci_u32_e64 v15, null, s11, v1, vcc_lo
	v_lshlrev_b64 v[8:9], 2, v[3:4]
	v_add_co_u32 v16, vcc_lo, s19, v8
	v_add_co_ci_u32_e64 v17, null, s21, v9, vcc_lo
	global_load_dwordx4 v[0:3], v[14:15], off
	s_clause 0x1
	global_load_dwordx4 v[4:7], v[16:17], off
	global_load_dword v13, v[16:17], off offset:16
	global_load_dword v14, v[14:15], off offset:16
	s_waitcnt vmcnt(2)
	v_fma_f32 v11, v0, v4, 0
	v_fmac_f32_e32 v11, v1, v5
	v_fmac_f32_e32 v11, v2, v6
	;; [unrolled: 1-line block ×3, first 2 shown]
	s_waitcnt vmcnt(0)
	v_fmac_f32_e32 v11, v14, v13
	v_add_f32_e32 v11, v12, v11
	global_store_dword v10, v11, s[4:5]
	s_cbranch_scc1 .LBB14_6
; %bb.4:
	s_ashr_i32 s22, s13, 2
	s_ashr_i32 s23, s22, 31
	s_add_u32 s4, s2, -1
	s_addc_u32 s5, s3, -1
	s_add_u32 s0, s0, s9
	s_addc_u32 s1, s1, s20
	s_add_u32 s0, s0, s15
	s_addc_u32 s1, s1, s6
	s_lshl_b64 s[6:7], s[22:23], 2
	v_add_co_u32 v8, vcc_lo, s0, v8
	s_add_u32 s0, s12, s6
	v_add_co_ci_u32_e64 v9, null, s1, v9, vcc_lo
	s_addc_u32 s1, s18, s7
	s_add_u32 s2, s16, s10
	s_addc_u32 s3, s17, s14
	s_add_u32 s0, s2, s0
	v_add_co_u32 v8, vcc_lo, v8, 20
	s_addc_u32 s1, s3, s1
	v_add_co_u32 v10, s0, s0, v10
	v_add_co_ci_u32_e64 v9, null, 0, v9, vcc_lo
	v_add_co_ci_u32_e64 v11, null, s1, 0, s0
	s_mov_b64 s[8:9], 1
	s_mov_b64 s[10:11], 5
	;; [unrolled: 1-line block ×6, first 2 shown]
.LBB14_5:                               ; =>This Inner Loop Header: Depth=1
	global_load_dword v15, v[8:9], off
	s_mul_i32 s3, s9, 0xcccccccd
	s_mul_hi_u32 s20, s8, 0xcccccccd
	s_mul_hi_u32 s2, s9, 0xcccccccd
	s_mul_i32 s1, s8, 0xcccccccc
	s_add_u32 s3, s3, s20
	s_mul_hi_u32 s0, s8, 0xcccccccc
	s_addc_u32 s2, s2, 0
	s_add_u32 s1, s1, s3
	s_addc_u32 s0, s0, 0
	s_mul_i32 s22, s9, 0xcccccccc
	s_add_u32 s0, s2, s0
	s_mul_hi_u32 s21, s9, 0xcccccccc
	s_addc_u32 s1, 0, 0
	s_add_u32 s0, s22, s0
	s_addc_u32 s1, s21, s1
	s_mul_i32 s26, s11, 0xcccccccd
	s_lshr_b64 s[0:1], s[0:1], 2
	s_mul_hi_u32 s27, s10, 0xcccccccd
	s_mul_i32 s0, s0, 5
	s_mul_hi_u32 s25, s11, 0xcccccccd
	s_sub_i32 s20, s8, s0
	s_mul_i32 s24, s10, 0xcccccccc
	s_add_u32 s0, s26, s27
	s_mul_hi_u32 s23, s10, 0xcccccccc
	s_addc_u32 s1, s25, 0
	s_add_u32 s0, s24, s0
	s_addc_u32 s0, s23, 0
	s_mul_i32 s29, s11, 0xcccccccc
	s_add_u32 s0, s1, s0
	s_mul_hi_u32 s28, s11, 0xcccccccc
	s_addc_u32 s1, 0, 0
	s_add_u32 s0, s29, s0
	s_addc_u32 s1, s28, s1
	s_mul_i32 s34, s13, 0xcccccccd
	s_lshr_b64 s[0:1], s[0:1], 2
	s_mul_hi_u32 s35, s12, 0xcccccccd
	s_mul_i32 s0, s0, 5
	s_mul_hi_u32 s33, s13, 0xcccccccd
	s_sub_i32 s21, s10, s0
	;; [unrolled: 18-line block ×5, first 2 shown]
	s_mul_i32 s53, s18, 0xcccccccc
	s_add_u32 s0, s55, s56
	s_mul_hi_u32 s52, s18, 0xcccccccc
	s_addc_u32 s1, s54, 0
	s_add_u32 s0, s53, s0
	s_addc_u32 s0, s52, 0
	s_mul_i32 s58, s19, 0xcccccccc
	s_add_u32 s0, s1, s0
	s_mul_hi_u32 s57, s19, 0xcccccccc
	s_addc_u32 s1, 0, 0
	s_add_u32 s0, s58, s0
	s_addc_u32 s1, s57, s1
	v_add_co_u32 v8, vcc_lo, v8, 4
	s_lshr_b64 s[0:1], s[0:1], 2
	v_add_co_ci_u32_e64 v9, null, 0, v9, vcc_lo
	s_mul_i32 s0, s0, 5
	s_sub_i32 s3, s18, s0
	s_cmp_eq_u32 s3, 4
	s_cselect_b32 vcc_lo, -1, 0
	s_cmp_eq_u32 s3, 3
	s_cselect_b32 s0, -1, 0
	s_cmp_eq_u32 s3, 2
	s_cselect_b32 s1, -1, 0
	;; [unrolled: 2-line block ×4, first 2 shown]
	s_cmp_eq_u32 s20, 1
	s_waitcnt vmcnt(0)
	v_cndmask_b32_e64 v5, v5, v15, s2
	v_cndmask_b32_e64 v4, v4, v15, s3
	v_cndmask_b32_e32 v13, v13, v15, vcc_lo
	s_cselect_b32 vcc_lo, -1, 0
	v_cndmask_b32_e64 v7, v7, v15, s0
	v_cndmask_b32_e64 v6, v6, v15, s1
	v_cndmask_b32_e32 v15, v4, v5, vcc_lo
	s_cmp_eq_u32 s20, 2
	s_cselect_b32 vcc_lo, -1, 0
	s_cmp_eq_u32 s20, 3
	v_cndmask_b32_e32 v15, v15, v6, vcc_lo
	s_cselect_b32 vcc_lo, -1, 0
	s_cmp_eq_u32 s20, 4
	v_cndmask_b32_e32 v15, v15, v7, vcc_lo
	s_cselect_b32 vcc_lo, -1, 0
	s_add_u32 s8, s8, 1
	s_addc_u32 s9, s9, 0
	s_cmp_eq_u32 s24, 1
	v_cndmask_b32_e32 v15, v15, v13, vcc_lo
	s_cselect_b32 s0, -1, 0
	s_cmp_eq_u32 s24, 2
	v_cndmask_b32_e64 v16, v4, v5, s0
	s_cselect_b32 vcc_lo, -1, 0
	s_cmp_eq_u32 s24, 3
	v_fma_f32 v15, v0, v15, 0
	v_cndmask_b32_e32 v16, v16, v6, vcc_lo
	s_cselect_b32 vcc_lo, -1, 0
	s_cmp_eq_u32 s24, 4
	v_cndmask_b32_e32 v16, v16, v7, vcc_lo
	s_cselect_b32 vcc_lo, -1, 0
	s_cmp_eq_u32 s23, 1
	s_cselect_b32 s0, -1, 0
	s_cmp_eq_u32 s23, 2
	v_cndmask_b32_e64 v17, v4, v5, s0
	s_cselect_b32 s0, -1, 0
	v_cndmask_b32_e32 v16, v16, v13, vcc_lo
	s_cmp_eq_u32 s23, 3
	v_cndmask_b32_e64 v17, v17, v6, s0
	s_cselect_b32 vcc_lo, -1, 0
	s_cmp_eq_u32 s23, 4
	v_fmac_f32_e32 v15, v1, v16
	v_cndmask_b32_e32 v16, v17, v7, vcc_lo
	s_cselect_b32 vcc_lo, -1, 0
	s_cmp_eq_u32 s22, 1
	s_cselect_b32 s0, -1, 0
	s_cmp_eq_u32 s22, 2
	v_cndmask_b32_e64 v17, v4, v5, s0
	s_cselect_b32 s0, -1, 0
	v_cndmask_b32_e32 v16, v16, v13, vcc_lo
	s_cmp_eq_u32 s22, 3
	v_cndmask_b32_e64 v17, v17, v6, s0
	s_cselect_b32 vcc_lo, -1, 0
	s_cmp_eq_u32 s22, 4
	v_fmac_f32_e32 v15, v2, v16
	v_cndmask_b32_e32 v16, v17, v7, vcc_lo
	s_cselect_b32 vcc_lo, -1, 0
	s_cmp_eq_u32 s21, 1
	s_cselect_b32 s0, -1, 0
	s_cmp_eq_u32 s21, 2
	v_cndmask_b32_e64 v17, v4, v5, s0
	s_cselect_b32 s0, -1, 0
	v_cndmask_b32_e32 v16, v16, v13, vcc_lo
	s_cmp_eq_u32 s21, 3
	v_cndmask_b32_e64 v17, v17, v6, s0
	s_cselect_b32 vcc_lo, -1, 0
	v_fmac_f32_e32 v15, v3, v16
	s_cmp_eq_u32 s21, 4
	v_cndmask_b32_e32 v16, v17, v7, vcc_lo
	s_cselect_b32 vcc_lo, -1, 0
	s_add_u32 s10, s10, 1
	s_addc_u32 s11, s11, 0
	s_add_u32 s12, s12, 1
	v_cndmask_b32_e32 v16, v16, v13, vcc_lo
	s_addc_u32 s13, s13, 0
	s_add_u32 s14, s14, 1
	s_addc_u32 s15, s15, 0
	s_add_u32 s4, s4, -1
	v_fmac_f32_e32 v15, v14, v16
	s_addc_u32 s5, s5, -1
	s_add_u32 s16, s16, 1
	s_addc_u32 s17, s17, 0
	s_add_u32 s18, s18, 1
	v_add_f32_e32 v15, v12, v15
	s_addc_u32 s19, s19, 0
	s_cmp_eq_u64 s[4:5], 0
	global_store_dword v[10:11], v15, off
	v_add_co_u32 v10, vcc_lo, v10, s6
	v_add_co_ci_u32_e64 v11, null, s7, v11, vcc_lo
	s_cbranch_scc0 .LBB14_5
.LBB14_6:
	s_endpgm
	.section	.rodata,"a",@progbits
	.p2align	6, 0x0
	.amdhsa_kernel _ZL12ssm_conv_f32ILb0ELm128ELm5EEvPKfS1_S1_iiiiPfiiil
		.amdhsa_group_segment_fixed_size 0
		.amdhsa_private_segment_fixed_size 0
		.amdhsa_kernarg_size 72
		.amdhsa_user_sgpr_count 6
		.amdhsa_user_sgpr_private_segment_buffer 1
		.amdhsa_user_sgpr_dispatch_ptr 0
		.amdhsa_user_sgpr_queue_ptr 0
		.amdhsa_user_sgpr_kernarg_segment_ptr 1
		.amdhsa_user_sgpr_dispatch_id 0
		.amdhsa_user_sgpr_flat_scratch_init 0
		.amdhsa_user_sgpr_private_segment_size 0
		.amdhsa_wavefront_size32 1
		.amdhsa_uses_dynamic_stack 0
		.amdhsa_system_sgpr_private_segment_wavefront_offset 0
		.amdhsa_system_sgpr_workgroup_id_x 1
		.amdhsa_system_sgpr_workgroup_id_y 1
		.amdhsa_system_sgpr_workgroup_id_z 0
		.amdhsa_system_sgpr_workgroup_info 0
		.amdhsa_system_vgpr_workitem_id 0
		.amdhsa_next_free_vgpr 18
		.amdhsa_next_free_sgpr 59
		.amdhsa_reserve_vcc 1
		.amdhsa_reserve_flat_scratch 0
		.amdhsa_float_round_mode_32 0
		.amdhsa_float_round_mode_16_64 0
		.amdhsa_float_denorm_mode_32 3
		.amdhsa_float_denorm_mode_16_64 3
		.amdhsa_dx10_clamp 1
		.amdhsa_ieee_mode 1
		.amdhsa_fp16_overflow 0
		.amdhsa_workgroup_processor_mode 1
		.amdhsa_memory_ordered 1
		.amdhsa_forward_progress 1
		.amdhsa_shared_vgpr_count 0
		.amdhsa_exception_fp_ieee_invalid_op 0
		.amdhsa_exception_fp_denorm_src 0
		.amdhsa_exception_fp_ieee_div_zero 0
		.amdhsa_exception_fp_ieee_overflow 0
		.amdhsa_exception_fp_ieee_underflow 0
		.amdhsa_exception_fp_ieee_inexact 0
		.amdhsa_exception_int_div_zero 0
	.end_amdhsa_kernel
	.section	.text._ZL12ssm_conv_f32ILb0ELm128ELm5EEvPKfS1_S1_iiiiPfiiil,"axG",@progbits,_ZL12ssm_conv_f32ILb0ELm128ELm5EEvPKfS1_S1_iiiiPfiiil,comdat
.Lfunc_end14:
	.size	_ZL12ssm_conv_f32ILb0ELm128ELm5EEvPKfS1_S1_iiiiPfiiil, .Lfunc_end14-_ZL12ssm_conv_f32ILb0ELm128ELm5EEvPKfS1_S1_iiiiPfiiil
                                        ; -- End function
	.set _ZL12ssm_conv_f32ILb0ELm128ELm5EEvPKfS1_S1_iiiiPfiiil.num_vgpr, 18
	.set _ZL12ssm_conv_f32ILb0ELm128ELm5EEvPKfS1_S1_iiiiPfiiil.num_agpr, 0
	.set _ZL12ssm_conv_f32ILb0ELm128ELm5EEvPKfS1_S1_iiiiPfiiil.numbered_sgpr, 59
	.set _ZL12ssm_conv_f32ILb0ELm128ELm5EEvPKfS1_S1_iiiiPfiiil.num_named_barrier, 0
	.set _ZL12ssm_conv_f32ILb0ELm128ELm5EEvPKfS1_S1_iiiiPfiiil.private_seg_size, 0
	.set _ZL12ssm_conv_f32ILb0ELm128ELm5EEvPKfS1_S1_iiiiPfiiil.uses_vcc, 1
	.set _ZL12ssm_conv_f32ILb0ELm128ELm5EEvPKfS1_S1_iiiiPfiiil.uses_flat_scratch, 0
	.set _ZL12ssm_conv_f32ILb0ELm128ELm5EEvPKfS1_S1_iiiiPfiiil.has_dyn_sized_stack, 0
	.set _ZL12ssm_conv_f32ILb0ELm128ELm5EEvPKfS1_S1_iiiiPfiiil.has_recursion, 0
	.set _ZL12ssm_conv_f32ILb0ELm128ELm5EEvPKfS1_S1_iiiiPfiiil.has_indirect_call, 0
	.section	.AMDGPU.csdata,"",@progbits
; Kernel info:
; codeLenInByte = 1700
; TotalNumSgprs: 61
; NumVgprs: 18
; ScratchSize: 0
; MemoryBound: 0
; FloatMode: 240
; IeeeMode: 1
; LDSByteSize: 0 bytes/workgroup (compile time only)
; SGPRBlocks: 0
; VGPRBlocks: 2
; NumSGPRsForWavesPerEU: 61
; NumVGPRsForWavesPerEU: 18
; Occupancy: 16
; WaveLimiterHint : 0
; COMPUTE_PGM_RSRC2:SCRATCH_EN: 0
; COMPUTE_PGM_RSRC2:USER_SGPR: 6
; COMPUTE_PGM_RSRC2:TRAP_HANDLER: 0
; COMPUTE_PGM_RSRC2:TGID_X_EN: 1
; COMPUTE_PGM_RSRC2:TGID_Y_EN: 1
; COMPUTE_PGM_RSRC2:TGID_Z_EN: 0
; COMPUTE_PGM_RSRC2:TIDIG_COMP_CNT: 0
	.section	.text._ZL23ssm_conv_long_token_f32ILb0ELm128ELm5ELl32EEvPKfS1_S1_iiiiPfiiil,"axG",@progbits,_ZL23ssm_conv_long_token_f32ILb0ELm128ELm5ELl32EEvPKfS1_S1_iiiiPfiiil,comdat
	.globl	_ZL23ssm_conv_long_token_f32ILb0ELm128ELm5ELl32EEvPKfS1_S1_iiiiPfiiil ; -- Begin function _ZL23ssm_conv_long_token_f32ILb0ELm128ELm5ELl32EEvPKfS1_S1_iiiiPfiiil
	.p2align	8
	.type	_ZL23ssm_conv_long_token_f32ILb0ELm128ELm5ELl32EEvPKfS1_S1_iiiiPfiiil,@function
_ZL23ssm_conv_long_token_f32ILb0ELm128ELm5ELl32EEvPKfS1_S1_iiiiPfiiil: ; @_ZL23ssm_conv_long_token_f32ILb0ELm128ELm5ELl32EEvPKfS1_S1_iiiiPfiiil
; %bb.0:
	s_clause 0x1
	s_load_dwordx2 s[12:13], s[4:5], 0x0
	s_load_dwordx4 s[0:3], s[4:5], 0x18
	s_mov_b32 s10, s7
	v_mul_u32_u24_e32 v1, 0x71d, v0
	v_lshrrev_b32_e32 v4, 16, v1
	v_mul_lo_u16 v1, v4, 36
	v_sub_nc_u16 v5, v0, v1
	s_waitcnt lgkmcnt(0)
	s_mul_i32 s2, s2, s6
	v_and_b32_e32 v1, 0xffff, v5
	s_ashr_i32 s7, s2, 31
	s_add_u32 s2, s12, s2
	s_addc_u32 s7, s13, s7
	s_ashr_i32 s11, s10, 31
	s_ashr_i32 s9, s1, 31
	s_lshl_b64 s[12:13], s[10:11], 7
	s_lshr_b64 s[10:11], s[10:11], 25
	s_mul_i32 s9, s12, s9
	s_mul_hi_u32 s14, s12, s1
	s_mul_i32 s10, s10, s1
	s_add_i32 s9, s14, s9
	s_add_i32 s9, s9, s10
	s_mul_i32 s10, s12, s1
	s_add_u32 s2, s2, s10
	s_addc_u32 s7, s7, s9
	s_ashr_i32 s9, s8, 31
	s_ashr_i32 s10, s0, 31
	s_lshl_b64 s[14:15], s[8:9], 5
	s_lshr_b64 s[8:9], s[8:9], 27
	s_mul_i32 s10, s14, s10
	s_mul_hi_u32 s11, s14, s0
	s_mul_i32 s8, s8, s0
	s_add_i32 s10, s11, s10
	s_mul_i32 s0, s14, s0
	s_add_i32 s10, s10, s8
	s_add_u32 s0, s2, s0
	s_addc_u32 s2, s7, s10
	s_ashr_i32 s1, s1, 2
	s_mov_b32 s7, exec_lo
	v_mad_u64_u32 v[2:3], null, s1, v4, v[1:2]
	v_lshlrev_b32_e32 v1, 2, v1
	v_ashrrev_i32_e32 v3, 31, v2
	v_lshlrev_b64 v[2:3], 2, v[2:3]
	v_add_co_u32 v2, vcc_lo, s0, v2
	v_add_co_ci_u32_e64 v3, null, s2, v3, vcc_lo
	global_load_dword v2, v[2:3], off
	v_mul_u32_u24_e32 v3, 0x90, v4
	v_add3_u32 v1, 0, v3, v1
	s_waitcnt vmcnt(0)
	ds_write_b32 v1, v2
	v_or_b32_e32 v1, 0x80, v5
	v_mul_lo_u16 v2, v1, 57
	v_lshrrev_b16 v2, 11, v2
	v_add_nc_u32_sdwa v4, v4, v2 dst_sel:DWORD dst_unused:UNUSED_PAD src0_sel:DWORD src1_sel:WORD_0
	v_mul_lo_u16 v2, v2, 36
	v_sub_nc_u16 v1, v1, v2
	v_and_b32_e32 v1, 0xff, v1
	v_mad_u64_u32 v[2:3], null, v4, s1, v[1:2]
	v_lshlrev_b32_e32 v5, 2, v1
	v_or_b32_e32 v1, 0x80, v1
	v_ashrrev_i32_e32 v3, 31, v2
	v_lshlrev_b64 v[2:3], 2, v[2:3]
	v_add_co_u32 v2, vcc_lo, s0, v2
	v_add_co_ci_u32_e64 v3, null, s2, v3, vcc_lo
	global_load_dword v2, v[2:3], off
	v_mul_u32_u24_e32 v3, 0x90, v4
	v_add3_u32 v3, 0, v3, v5
	s_waitcnt vmcnt(0)
	ds_write_b32 v3, v2
	v_mul_lo_u16 v2, v1, 57
	v_lshrrev_b16 v2, 11, v2
	v_add_nc_u32_sdwa v4, v4, v2 dst_sel:DWORD dst_unused:UNUSED_PAD src0_sel:DWORD src1_sel:WORD_0
	v_mul_lo_u16 v2, v2, 36
	v_sub_nc_u16 v1, v1, v2
	v_and_b32_e32 v1, 0xff, v1
	v_mad_u64_u32 v[2:3], null, v4, s1, v[1:2]
	v_lshlrev_b32_e32 v5, 2, v1
	v_or_b32_e32 v1, 0x80, v1
	v_ashrrev_i32_e32 v3, 31, v2
	v_lshlrev_b64 v[2:3], 2, v[2:3]
	v_add_co_u32 v2, vcc_lo, s0, v2
	v_add_co_ci_u32_e64 v3, null, s2, v3, vcc_lo
	global_load_dword v2, v[2:3], off
	v_mul_u32_u24_e32 v3, 0x90, v4
	v_add3_u32 v3, 0, v3, v5
	s_waitcnt vmcnt(0)
	ds_write_b32 v3, v2
	v_mul_lo_u16 v2, v1, 57
	v_lshrrev_b16 v2, 11, v2
	v_add_nc_u32_sdwa v4, v4, v2 dst_sel:DWORD dst_unused:UNUSED_PAD src0_sel:DWORD src1_sel:WORD_0
	v_mul_lo_u16 v2, v2, 36
	v_sub_nc_u16 v1, v1, v2
	v_and_b32_e32 v1, 0xff, v1
	v_mad_u64_u32 v[2:3], null, v4, s1, v[1:2]
	v_lshlrev_b32_e32 v5, 2, v1
	v_or_b32_e32 v1, 0x80, v1
	v_ashrrev_i32_e32 v3, 31, v2
	v_lshlrev_b64 v[2:3], 2, v[2:3]
	v_add_co_u32 v2, vcc_lo, s0, v2
	v_add_co_ci_u32_e64 v3, null, s2, v3, vcc_lo
	global_load_dword v2, v[2:3], off
	v_mul_u32_u24_e32 v3, 0x90, v4
	v_add3_u32 v3, 0, v3, v5
	s_waitcnt vmcnt(0)
	ds_write_b32 v3, v2
	v_mul_lo_u16 v2, v1, 57
	v_lshrrev_b16 v2, 11, v2
	v_add_nc_u32_sdwa v4, v4, v2 dst_sel:DWORD dst_unused:UNUSED_PAD src0_sel:DWORD src1_sel:WORD_0
	v_mul_lo_u16 v2, v2, 36
	v_sub_nc_u16 v1, v1, v2
	v_and_b32_e32 v1, 0xff, v1
	v_mad_u64_u32 v[2:3], null, v4, s1, v[1:2]
	v_lshlrev_b32_e32 v5, 2, v1
	v_or_b32_e32 v1, 0x80, v1
	v_ashrrev_i32_e32 v3, 31, v2
	v_lshlrev_b64 v[2:3], 2, v[2:3]
	v_add_co_u32 v2, vcc_lo, s0, v2
	v_add_co_ci_u32_e64 v3, null, s2, v3, vcc_lo
	global_load_dword v2, v[2:3], off
	v_mul_u32_u24_e32 v3, 0x90, v4
	v_add3_u32 v3, 0, v3, v5
	s_waitcnt vmcnt(0)
	ds_write_b32 v3, v2
	v_mul_lo_u16 v2, v1, 57
	v_lshrrev_b16 v2, 11, v2
	v_add_nc_u32_sdwa v4, v4, v2 dst_sel:DWORD dst_unused:UNUSED_PAD src0_sel:DWORD src1_sel:WORD_0
	v_mul_lo_u16 v2, v2, 36
	v_sub_nc_u16 v1, v1, v2
	v_and_b32_e32 v1, 0xff, v1
	v_mad_u64_u32 v[2:3], null, v4, s1, v[1:2]
	v_lshlrev_b32_e32 v5, 2, v1
	v_or_b32_e32 v1, 0x80, v1
	v_ashrrev_i32_e32 v3, 31, v2
	v_lshlrev_b64 v[2:3], 2, v[2:3]
	v_add_co_u32 v2, vcc_lo, s0, v2
	v_add_co_ci_u32_e64 v3, null, s2, v3, vcc_lo
	global_load_dword v2, v[2:3], off
	v_mul_u32_u24_e32 v3, 0x90, v4
	v_add3_u32 v3, 0, v3, v5
	s_waitcnt vmcnt(0)
	ds_write_b32 v3, v2
	v_mul_lo_u16 v2, v1, 57
	v_lshrrev_b16 v2, 11, v2
	v_add_nc_u32_sdwa v4, v4, v2 dst_sel:DWORD dst_unused:UNUSED_PAD src0_sel:DWORD src1_sel:WORD_0
	v_mul_lo_u16 v2, v2, 36
	v_sub_nc_u16 v1, v1, v2
	v_and_b32_e32 v1, 0xff, v1
	v_mad_u64_u32 v[2:3], null, v4, s1, v[1:2]
	v_lshlrev_b32_e32 v5, 2, v1
	v_or_b32_e32 v1, 0x80, v1
	v_ashrrev_i32_e32 v3, 31, v2
	v_lshlrev_b64 v[2:3], 2, v[2:3]
	v_add_co_u32 v2, vcc_lo, s0, v2
	v_add_co_ci_u32_e64 v3, null, s2, v3, vcc_lo
	global_load_dword v2, v[2:3], off
	v_mul_lo_u32 v3, 0x90, v4
	v_add3_u32 v3, 0, v3, v5
	s_waitcnt vmcnt(0)
	ds_write_b32 v3, v2
	v_mul_lo_u16 v2, v1, 57
	v_lshrrev_b16 v2, 11, v2
	v_add_nc_u32_sdwa v4, v4, v2 dst_sel:DWORD dst_unused:UNUSED_PAD src0_sel:DWORD src1_sel:WORD_0
	v_mul_lo_u16 v2, v2, 36
	v_sub_nc_u16 v1, v1, v2
	v_and_b32_e32 v1, 0xff, v1
	v_mad_u64_u32 v[2:3], null, v4, s1, v[1:2]
	v_lshlrev_b32_e32 v5, 2, v1
	v_or_b32_e32 v1, 0x80, v1
	v_ashrrev_i32_e32 v3, 31, v2
	v_lshlrev_b64 v[2:3], 2, v[2:3]
	v_add_co_u32 v2, vcc_lo, s0, v2
	v_add_co_ci_u32_e64 v3, null, s2, v3, vcc_lo
	global_load_dword v2, v[2:3], off
	v_mul_lo_u32 v3, 0x90, v4
	v_add3_u32 v3, 0, v3, v5
	s_waitcnt vmcnt(0)
	ds_write_b32 v3, v2
	;; [unrolled: 18-line block ×14, first 2 shown]
	v_mul_lo_u16 v2, v1, 57
	v_lshrrev_b16 v3, 11, v2
	v_add_nc_u32_sdwa v2, v4, v3 dst_sel:DWORD dst_unused:UNUSED_PAD src0_sel:DWORD src1_sel:WORD_0
	v_mul_lo_u16 v3, v3, 36
	v_sub_nc_u16 v1, v1, v3
	v_and_b32_e32 v1, 0xff, v1
	v_cmpx_gt_u32_e32 0x80, v2
	s_cbranch_execz .LBB15_2
; %bb.1:
	v_mad_u64_u32 v[3:4], null, v2, s1, v[1:2]
	v_lshlrev_b32_e32 v5, 2, v1
	v_ashrrev_i32_e32 v4, 31, v3
	v_lshlrev_b64 v[3:4], 2, v[3:4]
	v_add_co_u32 v3, vcc_lo, s0, v3
	v_add_co_ci_u32_e64 v4, null, s2, v4, vcc_lo
	global_load_dword v3, v[3:4], off
	v_mul_lo_u32 v4, 0x90, v2
	v_add3_u32 v4, 0, v4, v5
	s_waitcnt vmcnt(0)
	ds_write_b32 v4, v3
.LBB15_2:
	s_or_b32 exec_lo, exec_lo, s7
	v_or_b32_e32 v1, 0x80, v1
	s_mov_b32 s7, exec_lo
	v_mul_lo_u16 v3, v1, 57
	v_lshrrev_b16 v3, 11, v3
	v_mul_lo_u16 v4, v3, 36
	v_add_nc_u32_sdwa v2, v2, v3 dst_sel:DWORD dst_unused:UNUSED_PAD src0_sel:DWORD src1_sel:WORD_0
	v_sub_nc_u16 v1, v1, v4
	v_and_b32_e32 v1, 0xff, v1
	v_cmpx_gt_u32_e32 0x80, v2
	s_cbranch_execz .LBB15_4
; %bb.3:
	v_mad_u64_u32 v[3:4], null, v2, s1, v[1:2]
	v_lshlrev_b32_e32 v5, 2, v1
	v_ashrrev_i32_e32 v4, 31, v3
	v_lshlrev_b64 v[3:4], 2, v[3:4]
	v_add_co_u32 v3, vcc_lo, s0, v3
	v_add_co_ci_u32_e64 v4, null, s2, v4, vcc_lo
	global_load_dword v3, v[3:4], off
	v_mul_lo_u32 v4, 0x90, v2
	v_add3_u32 v4, 0, v4, v5
	s_waitcnt vmcnt(0)
	ds_write_b32 v4, v3
.LBB15_4:
	s_or_b32 exec_lo, exec_lo, s7
	v_or_b32_e32 v1, 0x80, v1
	s_mov_b32 s7, exec_lo
	v_mul_lo_u16 v3, v1, 57
	v_lshrrev_b16 v3, 11, v3
	v_mul_lo_u16 v4, v3, 36
	v_add_nc_u32_sdwa v2, v2, v3 dst_sel:DWORD dst_unused:UNUSED_PAD src0_sel:DWORD src1_sel:WORD_0
	;; [unrolled: 24-line block ×8, first 2 shown]
	v_sub_nc_u16 v1, v1, v4
	v_and_b32_e32 v1, 0xff, v1
	v_cmpx_gt_u32_e32 0x80, v2
	s_cbranch_execz .LBB15_18
; %bb.17:
	v_mad_u64_u32 v[3:4], null, v2, s1, v[1:2]
	v_lshlrev_b32_e32 v5, 2, v1
	v_ashrrev_i32_e32 v4, 31, v3
	v_lshlrev_b64 v[3:4], 2, v[3:4]
	v_add_co_u32 v3, vcc_lo, s0, v3
	v_add_co_ci_u32_e64 v4, null, s2, v4, vcc_lo
	global_load_dword v3, v[3:4], off
	v_mul_lo_u32 v4, 0x90, v2
	v_add3_u32 v4, 0, v4, v5
	s_waitcnt vmcnt(0)
	ds_write_b32 v4, v3
.LBB15_18:
	s_or_b32 exec_lo, exec_lo, s7
	s_clause 0x1
	s_load_dwordx4 s[8:11], s[4:5], 0x8
	s_load_dwordx2 s[16:17], s[4:5], 0x28
	s_mov_b32 s7, exec_lo
	v_cmpx_gt_u32_e32 0x380, v0
	s_cbranch_execz .LBB15_39
; %bb.19:
	v_or_b32_e32 v1, 0x80, v1
	s_mov_b32 s18, exec_lo
	v_mul_lo_u16 v3, v1, 57
	v_lshrrev_b16 v3, 11, v3
	v_mul_lo_u16 v4, v3, 36
	v_add_nc_u32_sdwa v2, v2, v3 dst_sel:DWORD dst_unused:UNUSED_PAD src0_sel:DWORD src1_sel:WORD_0
	v_sub_nc_u16 v1, v1, v4
	v_and_b32_e32 v1, 0xff, v1
	v_cmpx_gt_u32_e32 0x80, v2
	s_cbranch_execz .LBB15_21
; %bb.20:
	v_mad_u64_u32 v[3:4], null, v2, s1, v[1:2]
	v_lshlrev_b32_e32 v5, 2, v1
	v_ashrrev_i32_e32 v4, 31, v3
	v_lshlrev_b64 v[3:4], 2, v[3:4]
	v_add_co_u32 v3, vcc_lo, s0, v3
	v_add_co_ci_u32_e64 v4, null, s2, v4, vcc_lo
	global_load_dword v3, v[3:4], off
	v_mul_lo_u32 v4, 0x90, v2
	v_add3_u32 v4, 0, v4, v5
	s_waitcnt vmcnt(0)
	ds_write_b32 v4, v3
.LBB15_21:
	s_or_b32 exec_lo, exec_lo, s18
	v_cmp_gt_u32_e32 vcc_lo, 0x300, v0
	s_and_b32 exec_lo, exec_lo, vcc_lo
	s_cbranch_execz .LBB15_39
; %bb.22:
	v_or_b32_e32 v1, 0x80, v1
	s_mov_b32 s18, exec_lo
	v_mul_lo_u16 v3, v1, 57
	v_lshrrev_b16 v3, 11, v3
	v_mul_lo_u16 v4, v3, 36
	v_add_nc_u32_sdwa v2, v2, v3 dst_sel:DWORD dst_unused:UNUSED_PAD src0_sel:DWORD src1_sel:WORD_0
	v_sub_nc_u16 v1, v1, v4
	v_and_b32_e32 v1, 0xff, v1
	v_cmpx_gt_u32_e32 0x80, v2
	s_cbranch_execz .LBB15_24
; %bb.23:
	v_mad_u64_u32 v[3:4], null, v2, s1, v[1:2]
	v_lshlrev_b32_e32 v5, 2, v1
	v_ashrrev_i32_e32 v4, 31, v3
	v_lshlrev_b64 v[3:4], 2, v[3:4]
	v_add_co_u32 v3, vcc_lo, s0, v3
	v_add_co_ci_u32_e64 v4, null, s2, v4, vcc_lo
	global_load_dword v3, v[3:4], off
	v_mul_lo_u32 v4, 0x90, v2
	v_add3_u32 v4, 0, v4, v5
	s_waitcnt vmcnt(0)
	ds_write_b32 v4, v3
.LBB15_24:
	s_or_b32 exec_lo, exec_lo, s18
	v_cmp_gt_u32_e32 vcc_lo, 0x280, v0
	s_and_b32 exec_lo, exec_lo, vcc_lo
	;; [unrolled: 28-line block ×6, first 2 shown]
	s_cbranch_execz .LBB15_39
; %bb.37:
	v_or_b32_e32 v3, 0x80, v1
	v_mul_lo_u16 v1, v3, 57
	v_lshrrev_b16 v4, 11, v1
	v_add_nc_u32_sdwa v1, v2, v4 dst_sel:DWORD dst_unused:UNUSED_PAD src0_sel:DWORD src1_sel:WORD_0
	v_cmp_gt_u32_e32 vcc_lo, 0x80, v1
	s_and_b32 exec_lo, exec_lo, vcc_lo
	s_cbranch_execz .LBB15_39
; %bb.38:
	v_mul_lo_u16 v2, v4, 36
	v_sub_nc_u16 v2, v3, v2
	v_and_b32_e32 v2, 0xff, v2
	v_mad_u64_u32 v[3:4], null, v1, s1, v[2:3]
	v_mul_lo_u32 v1, 0x90, v1
	v_lshlrev_b32_e32 v2, 2, v2
	v_ashrrev_i32_e32 v4, 31, v3
	v_add3_u32 v1, 0, v1, v2
	v_lshlrev_b64 v[3:4], 2, v[3:4]
	v_add_co_u32 v3, vcc_lo, s0, v3
	v_add_co_ci_u32_e64 v4, null, s2, v4, vcc_lo
	global_load_dword v3, v[3:4], off
	s_waitcnt vmcnt(0)
	ds_write_b32 v1, v3
.LBB15_39:
	s_or_b32 exec_lo, exec_lo, s7
	s_ashr_i32 s0, s3, 31
	s_mul_hi_u32 s1, s12, s3
	s_mul_i32 s0, s12, s0
	s_mul_i32 s2, s13, s3
	s_add_i32 s0, s1, s0
	s_mul_i32 s1, s12, s3
	s_add_i32 s0, s0, s2
	s_waitcnt lgkmcnt(0)
	s_add_u32 s1, s8, s1
	s_addc_u32 s0, s9, s0
	s_ashr_i32 s2, s3, 2
	v_mul_lo_u32 v1, s2, v0
	s_barrier
	buffer_gl0_inv
	v_lshlrev_b32_e32 v6, 2, v0
	s_cmp_eq_u64 s[10:11], 0
	v_ashrrev_i32_e32 v2, 31, v1
	v_lshlrev_b64 v[1:2], 2, v[1:2]
	v_add_co_u32 v1, vcc_lo, s1, v1
	v_add_co_ci_u32_e64 v2, null, s0, v2, vcc_lo
	s_clause 0x1
	global_load_dword v9, v[1:2], off offset:16
	global_load_dwordx4 v[1:4], v[1:2], off
	s_cbranch_scc1 .LBB15_41
; %bb.40:
	s_lshl_b64 s[0:1], s[12:13], 2
	s_add_u32 s0, s10, s0
	s_addc_u32 s1, s11, s1
	global_load_dword v10, v6, s[0:1]
	s_branch .LBB15_42
.LBB15_41:
	v_mov_b32_e32 v10, 0
.LBB15_42:
	s_load_dwordx2 s[0:1], s[4:5], 0x40
	s_waitcnt lgkmcnt(0)
	s_sub_u32 s8, s0, s14
	s_subb_u32 s9, s1, s15
	v_cmp_lt_i64_e64 s0, s[8:9], 1
	s_and_b32 vcc_lo, exec_lo, s0
	s_cbranch_vccnz .LBB15_45
; %bb.43:
	s_load_dwordx4 s[0:3], s[4:5], 0x30
	v_mad_u32_u24 v0, 0x90, v0, 0
	ds_read_b32 v5, v0
	s_waitcnt lgkmcnt(0)
	s_mul_i32 s2, s2, s6
	s_mul_hi_u32 s5, s14, s1
	s_ashr_i32 s3, s2, 31
	s_add_u32 s2, s16, s2
	s_addc_u32 s3, s17, s3
	s_ashr_i32 s4, s1, 31
	s_mul_i32 s6, s15, s1
	s_mul_i32 s4, s14, s4
	s_add_i32 s4, s5, s4
	s_mul_i32 s5, s14, s1
	s_add_i32 s4, s4, s6
	s_add_u32 s2, s2, s5
	s_addc_u32 s3, s3, s4
	s_ashr_i32 s4, s0, 31
	s_mul_hi_u32 s5, s12, s0
	s_mul_i32 s4, s12, s4
	s_mul_i32 s6, s13, s0
	s_add_i32 s4, s5, s4
	s_mul_i32 s0, s12, s0
	s_add_i32 s4, s4, s6
	s_add_u32 s0, s2, s0
	s_addc_u32 s4, s3, s4
	s_ashr_i32 s2, s1, 2
	v_cmp_lt_u64_e64 s1, s[8:9], 32
	v_add_co_u32 v7, s0, s0, v6
	v_add_co_ci_u32_e64 v8, null, s4, 0, s0
	s_ashr_i32 s3, s2, 31
	s_and_b32 s0, s1, exec_lo
	s_cselect_b32 s1, s9, 0
	s_cselect_b32 s0, s8, 32
	s_lshl_b64 s[2:3], s[2:3], 2
	.p2align	6
.LBB15_44:                              ; =>This Inner Loop Header: Depth=1
	s_waitcnt vmcnt(0)
	v_fma_f32 v13, v1, v5, 0
	ds_read2_b32 v[5:6], v0 offset0:1 offset1:2
	ds_read2_b32 v[11:12], v0 offset0:3 offset1:4
	v_add_nc_u32_e32 v0, 4, v0
	s_add_u32 s0, s0, -1
	s_addc_u32 s1, s1, -1
	s_cmp_lg_u64 s[0:1], 0
	s_waitcnt lgkmcnt(1)
	v_fmac_f32_e32 v13, v2, v5
	v_fmac_f32_e32 v13, v3, v6
	s_waitcnt lgkmcnt(0)
	v_fmac_f32_e32 v13, v4, v11
	v_fmac_f32_e32 v13, v9, v12
	v_add_f32_e32 v6, v10, v13
	global_store_dword v[7:8], v6, off
	v_add_co_u32 v7, vcc_lo, v7, s2
	v_add_co_ci_u32_e64 v8, null, s3, v8, vcc_lo
	s_cbranch_scc1 .LBB15_44
.LBB15_45:
	s_endpgm
	.section	.rodata,"a",@progbits
	.p2align	6, 0x0
	.amdhsa_kernel _ZL23ssm_conv_long_token_f32ILb0ELm128ELm5ELl32EEvPKfS1_S1_iiiiPfiiil
		.amdhsa_group_segment_fixed_size 0
		.amdhsa_private_segment_fixed_size 0
		.amdhsa_kernarg_size 72
		.amdhsa_user_sgpr_count 6
		.amdhsa_user_sgpr_private_segment_buffer 1
		.amdhsa_user_sgpr_dispatch_ptr 0
		.amdhsa_user_sgpr_queue_ptr 0
		.amdhsa_user_sgpr_kernarg_segment_ptr 1
		.amdhsa_user_sgpr_dispatch_id 0
		.amdhsa_user_sgpr_flat_scratch_init 0
		.amdhsa_user_sgpr_private_segment_size 0
		.amdhsa_wavefront_size32 1
		.amdhsa_uses_dynamic_stack 0
		.amdhsa_system_sgpr_private_segment_wavefront_offset 0
		.amdhsa_system_sgpr_workgroup_id_x 1
		.amdhsa_system_sgpr_workgroup_id_y 1
		.amdhsa_system_sgpr_workgroup_id_z 1
		.amdhsa_system_sgpr_workgroup_info 0
		.amdhsa_system_vgpr_workitem_id 0
		.amdhsa_next_free_vgpr 14
		.amdhsa_next_free_sgpr 19
		.amdhsa_reserve_vcc 1
		.amdhsa_reserve_flat_scratch 0
		.amdhsa_float_round_mode_32 0
		.amdhsa_float_round_mode_16_64 0
		.amdhsa_float_denorm_mode_32 3
		.amdhsa_float_denorm_mode_16_64 3
		.amdhsa_dx10_clamp 1
		.amdhsa_ieee_mode 1
		.amdhsa_fp16_overflow 0
		.amdhsa_workgroup_processor_mode 1
		.amdhsa_memory_ordered 1
		.amdhsa_forward_progress 1
		.amdhsa_shared_vgpr_count 0
		.amdhsa_exception_fp_ieee_invalid_op 0
		.amdhsa_exception_fp_denorm_src 0
		.amdhsa_exception_fp_ieee_div_zero 0
		.amdhsa_exception_fp_ieee_overflow 0
		.amdhsa_exception_fp_ieee_underflow 0
		.amdhsa_exception_fp_ieee_inexact 0
		.amdhsa_exception_int_div_zero 0
	.end_amdhsa_kernel
	.section	.text._ZL23ssm_conv_long_token_f32ILb0ELm128ELm5ELl32EEvPKfS1_S1_iiiiPfiiil,"axG",@progbits,_ZL23ssm_conv_long_token_f32ILb0ELm128ELm5ELl32EEvPKfS1_S1_iiiiPfiiil,comdat
.Lfunc_end15:
	.size	_ZL23ssm_conv_long_token_f32ILb0ELm128ELm5ELl32EEvPKfS1_S1_iiiiPfiiil, .Lfunc_end15-_ZL23ssm_conv_long_token_f32ILb0ELm128ELm5ELl32EEvPKfS1_S1_iiiiPfiiil
                                        ; -- End function
	.set _ZL23ssm_conv_long_token_f32ILb0ELm128ELm5ELl32EEvPKfS1_S1_iiiiPfiiil.num_vgpr, 14
	.set _ZL23ssm_conv_long_token_f32ILb0ELm128ELm5ELl32EEvPKfS1_S1_iiiiPfiiil.num_agpr, 0
	.set _ZL23ssm_conv_long_token_f32ILb0ELm128ELm5ELl32EEvPKfS1_S1_iiiiPfiiil.numbered_sgpr, 19
	.set _ZL23ssm_conv_long_token_f32ILb0ELm128ELm5ELl32EEvPKfS1_S1_iiiiPfiiil.num_named_barrier, 0
	.set _ZL23ssm_conv_long_token_f32ILb0ELm128ELm5ELl32EEvPKfS1_S1_iiiiPfiiil.private_seg_size, 0
	.set _ZL23ssm_conv_long_token_f32ILb0ELm128ELm5ELl32EEvPKfS1_S1_iiiiPfiiil.uses_vcc, 1
	.set _ZL23ssm_conv_long_token_f32ILb0ELm128ELm5ELl32EEvPKfS1_S1_iiiiPfiiil.uses_flat_scratch, 0
	.set _ZL23ssm_conv_long_token_f32ILb0ELm128ELm5ELl32EEvPKfS1_S1_iiiiPfiiil.has_dyn_sized_stack, 0
	.set _ZL23ssm_conv_long_token_f32ILb0ELm128ELm5ELl32EEvPKfS1_S1_iiiiPfiiil.has_recursion, 0
	.set _ZL23ssm_conv_long_token_f32ILb0ELm128ELm5ELl32EEvPKfS1_S1_iiiiPfiiil.has_indirect_call, 0
	.section	.AMDGPU.csdata,"",@progbits
; Kernel info:
; codeLenInByte = 5928
; TotalNumSgprs: 21
; NumVgprs: 14
; ScratchSize: 0
; MemoryBound: 0
; FloatMode: 240
; IeeeMode: 1
; LDSByteSize: 0 bytes/workgroup (compile time only)
; SGPRBlocks: 0
; VGPRBlocks: 1
; NumSGPRsForWavesPerEU: 21
; NumVGPRsForWavesPerEU: 14
; Occupancy: 16
; WaveLimiterHint : 0
; COMPUTE_PGM_RSRC2:SCRATCH_EN: 0
; COMPUTE_PGM_RSRC2:USER_SGPR: 6
; COMPUTE_PGM_RSRC2:TRAP_HANDLER: 0
; COMPUTE_PGM_RSRC2:TGID_X_EN: 1
; COMPUTE_PGM_RSRC2:TGID_Y_EN: 1
; COMPUTE_PGM_RSRC2:TGID_Z_EN: 1
; COMPUTE_PGM_RSRC2:TIDIG_COMP_CNT: 0
	.section	.text._ZL12ssm_conv_f32ILb0ELm128ELm9EEvPKfS1_S1_iiiiPfiiil,"axG",@progbits,_ZL12ssm_conv_f32ILb0ELm128ELm9EEvPKfS1_S1_iiiiPfiiil,comdat
	.globl	_ZL12ssm_conv_f32ILb0ELm128ELm9EEvPKfS1_S1_iiiiPfiiil ; -- Begin function _ZL12ssm_conv_f32ILb0ELm128ELm9EEvPKfS1_S1_iiiiPfiiil
	.p2align	8
	.type	_ZL12ssm_conv_f32ILb0ELm128ELm9EEvPKfS1_S1_iiiiPfiiil,@function
_ZL12ssm_conv_f32ILb0ELm128ELm9EEvPKfS1_S1_iiiiPfiiil: ; @_ZL12ssm_conv_f32ILb0ELm128ELm9EEvPKfS1_S1_iiiiPfiiil
; %bb.0:
	s_clause 0x2
	s_load_dwordx4 s[8:11], s[4:5], 0x1c
	s_load_dwordx4 s[0:3], s[4:5], 0x0
	s_load_dwordx2 s[12:13], s[4:5], 0x10
	s_mov_b32 s14, s7
	s_ashr_i32 s15, s7, 31
	v_lshlrev_b32_e32 v19, 2, v0
	s_lshl_b64 s[16:17], s[14:15], 7
	s_lshr_b64 s[14:15], s[14:15], 25
	s_waitcnt lgkmcnt(0)
	s_ashr_i32 s7, s10, 31
	s_mul_hi_u32 s11, s16, s10
	s_mul_i32 s7, s16, s7
	s_mul_i32 s14, s14, s10
	s_add_i32 s7, s11, s7
	s_mul_i32 s11, s16, s10
	s_add_i32 s7, s7, s14
	s_add_u32 s11, s2, s11
	s_addc_u32 s18, s3, s7
	s_cmp_eq_u64 s[12:13], 0
	s_cbranch_scc1 .LBB16_2
; %bb.1:
	s_lshl_b64 s[2:3], s[16:17], 2
	s_add_u32 s2, s12, s2
	s_addc_u32 s3, s13, s3
	global_load_dword v21, v19, s[2:3]
	s_load_dwordx2 s[2:3], s[4:5], 0x40
	s_waitcnt lgkmcnt(0)
	v_cmp_lt_i64_e64 s7, s[2:3], 1
	s_and_b32 vcc_lo, exec_lo, s7
	s_cbranch_vccz .LBB16_3
	s_branch .LBB16_6
.LBB16_2:
	v_mov_b32_e32 v21, 0
	s_load_dwordx2 s[2:3], s[4:5], 0x40
	s_waitcnt lgkmcnt(0)
	v_cmp_lt_i64_e64 s7, s[2:3], 1
	s_and_b32 vcc_lo, exec_lo, s7
	s_cbranch_vccnz .LBB16_6
.LBB16_3:
	s_clause 0x1
	s_load_dwordx4 s[12:15], s[4:5], 0x30
	s_load_dwordx2 s[4:5], s[4:5], 0x28
	s_mul_i32 s7, s9, s6
	s_ashr_i32 s9, s8, 31
	s_mul_hi_u32 s20, s16, s8
	s_mul_i32 s9, s16, s9
	s_mul_i32 s21, s17, s8
	s_add_i32 s9, s20, s9
	s_ashr_i32 s19, s10, 2
	s_waitcnt lgkmcnt(0)
	s_ashr_i32 s15, s7, 31
	s_mul_i32 s10, s16, s8
	v_mul_lo_u32 v3, s19, v0
	v_ashrrev_i32_e32 v4, 31, v3
	s_mul_i32 s6, s14, s6
	s_add_i32 s14, s9, s21
	s_ashr_i32 s9, s6, 31
	s_add_u32 s20, s4, s6
	s_addc_u32 s21, s5, s9
	s_ashr_i32 s22, s12, 31
	s_mul_hi_u32 s23, s16, s12
	s_mul_i32 s22, s16, s22
	s_mul_i32 s17, s17, s12
	s_add_i32 s22, s23, s22
	s_mul_i32 s12, s16, s12
	s_add_i32 s16, s22, s17
	s_add_u32 s20, s20, s12
	s_addc_u32 s21, s21, s16
	s_add_u32 s17, s0, s7
	s_addc_u32 s22, s1, s15
	;; [unrolled: 2-line block ×3, first 2 shown]
	s_ashr_i32 s8, s8, 2
	s_cmp_eq_u64 s[2:3], 1
	v_mul_lo_u32 v1, s8, v0
	v_ashrrev_i32_e32 v2, 31, v1
	v_lshlrev_b64 v[17:18], 2, v[1:2]
	v_lshlrev_b64 v[0:1], 2, v[3:4]
	v_add_co_u32 v23, vcc_lo, s17, v17
	v_add_co_ci_u32_e64 v24, null, s22, v18, vcc_lo
	v_add_co_u32 v25, vcc_lo, s11, v0
	v_add_co_ci_u32_e64 v26, null, s18, v1, vcc_lo
	global_load_dwordx4 v[0:3], v[23:24], off
	s_clause 0x1
	global_load_dwordx4 v[9:12], v[25:26], off
	global_load_dwordx4 v[13:16], v[25:26], off offset:16
	global_load_dwordx4 v[4:7], v[23:24], off offset:16
	global_load_dword v22, v[25:26], off offset:32
	global_load_dword v8, v[23:24], off offset:32
	s_waitcnt vmcnt(4)
	v_fma_f32 v20, v9, v0, 0
	v_fmac_f32_e32 v20, v10, v1
	v_fmac_f32_e32 v20, v11, v2
	;; [unrolled: 1-line block ×3, first 2 shown]
	s_waitcnt vmcnt(2)
	v_fmac_f32_e32 v20, v13, v4
	v_fmac_f32_e32 v20, v14, v5
	;; [unrolled: 1-line block ×4, first 2 shown]
	s_waitcnt vmcnt(0)
	v_fmac_f32_e32 v20, v22, v8
	v_add_f32_e32 v20, v21, v20
	global_store_dword v19, v20, s[20:21]
	s_cbranch_scc1 .LBB16_6
; %bb.4:
	s_ashr_i32 s18, s13, 2
	s_mov_b64 s[20:21], 3
	s_ashr_i32 s19, s18, 31
	s_add_u32 s2, s2, -1
	s_addc_u32 s3, s3, -1
	s_add_u32 s0, s0, s7
	s_addc_u32 s1, s1, s15
	s_add_u32 s0, s0, s10
	s_addc_u32 s1, s1, s14
	v_add_co_u32 v17, vcc_lo, s0, v17
	v_add_co_ci_u32_e64 v18, null, s1, v18, vcc_lo
	s_lshl_b64 s[0:1], s[18:19], 2
	v_add_co_u32 v17, vcc_lo, v17, 36
	s_add_u32 s7, s12, s0
	s_addc_u32 s8, s16, s1
	s_add_u32 s4, s4, s6
	s_addc_u32 s5, s5, s9
	;; [unrolled: 2-line block ×3, first 2 shown]
	v_add_co_u32 v19, s4, s4, v19
	v_add_co_ci_u32_e64 v18, null, 0, v18, vcc_lo
	v_add_co_ci_u32_e64 v20, null, s5, 0, s4
	s_mov_b64 s[4:5], 1
	s_mov_b64 s[6:7], 0
	;; [unrolled: 1-line block ×9, first 2 shown]
.LBB16_5:                               ; =>This Inner Loop Header: Depth=1
	global_load_dword v23, v[17:18], off
	s_mul_i32 s36, s5, 0x8e38e38f
	s_mul_hi_u32 s37, s4, 0x8e38e38f
	s_mul_hi_u32 s35, s5, 0x8e38e38f
	s_mul_i32 s34, s4, 0xe38e38e3
	s_add_u32 s36, s36, s37
	s_mul_hi_u32 s33, s4, 0xe38e38e3
	s_addc_u32 s35, s35, 0
	s_add_u32 s34, s34, s36
	s_addc_u32 s33, s33, 0
	s_mul_i32 s39, s5, 0xe38e38e3
	s_add_u32 s33, s35, s33
	s_mul_hi_u32 s38, s5, 0xe38e38e3
	s_addc_u32 s35, 0, 0
	s_add_u32 s34, s39, s33
	s_addc_u32 s35, s38, s35
	s_mul_i32 s43, s9, 0x8e38e38f
	s_mul_hi_u32 s44, s8, 0x8e38e38f
	s_mul_hi_u32 s42, s9, 0x8e38e38f
	s_lshr_b64 s[34:35], s[34:35], 3
	s_mul_i32 s41, s8, 0xe38e38e3
	s_add_u32 s33, s43, s44
	s_mul_hi_u32 s40, s8, 0xe38e38e3
	s_mul_i32 s36, s34, 9
	s_addc_u32 s34, s42, 0
	s_add_u32 s33, s41, s33
	s_addc_u32 s33, s40, 0
	s_mul_i32 s46, s9, 0xe38e38e3
	s_add_u32 s33, s34, s33
	s_mul_hi_u32 s45, s9, 0xe38e38e3
	s_addc_u32 s35, 0, 0
	s_add_u32 s34, s46, s33
	s_addc_u32 s35, s45, s35
	s_mul_i32 s50, s11, 0x8e38e38f
	s_mul_hi_u32 s51, s10, 0x8e38e38f
	s_mul_hi_u32 s49, s11, 0x8e38e38f
	s_lshr_b64 s[34:35], s[34:35], 3
	s_mul_i32 s48, s10, 0xe38e38e3
	s_add_u32 s33, s50, s51
	s_mul_hi_u32 s47, s10, 0xe38e38e3
	s_mul_i32 s37, s34, 9
	;; [unrolled: 17-line block ×8, first 2 shown]
	s_addc_u32 s34, s89, 0
	s_add_u32 s31, s31, s33
	s_addc_u32 s27, s27, 0
	s_mul_i32 s92, s23, 0xe38e38e3
	s_add_u32 s27, s34, s27
	s_mul_hi_u32 s29, s23, 0xe38e38e3
	s_addc_u32 s31, 0, 0
	s_add_u32 s34, s92, s27
	s_addc_u32 s35, s29, s31
	s_mul_i32 s93, s7, 0x8e38e38f
	s_mul_hi_u32 s94, s6, 0x8e38e38f
	s_mul_hi_u32 s30, s7, 0x8e38e38f
	s_lshr_b64 s[34:35], s[34:35], 3
	s_mul_i32 s26, s6, 0xe38e38e3
	s_add_u32 s27, s93, s94
	s_mul_hi_u32 s24, s6, 0xe38e38e3
	s_addc_u32 s30, s30, 0
	s_add_u32 s26, s26, s27
	s_addc_u32 s24, s24, 0
	s_mul_i32 s28, s7, 0xe38e38e3
	s_add_u32 s24, s30, s24
	s_mul_hi_u32 s25, s7, 0xe38e38e3
	s_addc_u32 s26, 0, 0
	s_add_u32 s24, s28, s24
	s_addc_u32 s25, s25, s26
	s_sub_i32 s26, s6, s36
	s_lshr_b64 s[24:25], s[24:25], 3
	s_mul_i32 s29, s34, 9
	s_mul_i32 s24, s24, -9
	v_add_co_u32 v17, vcc_lo, v17, 4
	s_add_i32 m0, s6, s24
	v_add_co_ci_u32_e64 v18, null, 0, v18, vcc_lo
	s_waitcnt vmcnt(0)
	v_movreld_b32_e32 v0, v23
	s_add_i32 m0, s26, 1
	s_add_u32 s4, s4, 1
	v_movrels_b32_e32 v23, v0
	s_addc_u32 s5, s5, 0
	s_sub_i32 s24, s6, s29
	s_sub_i32 s25, s6, s43
	s_add_i32 m0, s24, 2
	v_fma_f32 v23, v9, v23, 0
	v_movrels_b32_e32 v24, v0
	s_add_i32 m0, s25, 3
	s_sub_i32 s26, s6, s42
	v_movrels_b32_e32 v25, v0
	s_add_i32 m0, s26, 4
	v_fmac_f32_e32 v23, v10, v24
	v_movrels_b32_e32 v26, v0
	s_sub_i32 s27, s6, s41
	s_sub_i32 s28, s6, s40
	s_add_i32 m0, s27, 5
	v_fmac_f32_e32 v23, v11, v25
	v_movrels_b32_e32 v27, v0
	s_add_i32 m0, s28, 6
	s_sub_i32 s29, s6, s39
	v_movrels_b32_e32 v28, v0
	v_fmac_f32_e32 v23, v12, v26
	s_add_i32 m0, s29, 7
	s_sub_i32 s30, s6, s38
	v_movrels_b32_e32 v24, v0
	s_add_i32 m0, s30, 8
	v_fmac_f32_e32 v23, v13, v27
	v_movrels_b32_e32 v29, v0
	s_sub_i32 s31, s6, s37
	s_add_i32 m0, s31, 9
	v_fmac_f32_e32 v23, v14, v28
	v_movrels_b32_e32 v25, v0
	s_add_u32 s6, s6, 1
	s_addc_u32 s7, s7, 0
	s_add_u32 s8, s8, 1
	v_fmac_f32_e32 v23, v15, v24
	s_addc_u32 s9, s9, 0
	s_add_u32 s10, s10, 1
	s_addc_u32 s11, s11, 0
	s_add_u32 s12, s12, 1
	v_fmac_f32_e32 v23, v16, v29
	s_addc_u32 s13, s13, 0
	;; [unrolled: 5-line block ×3, first 2 shown]
	s_add_u32 s18, s18, 1
	s_addc_u32 s19, s19, 0
	s_add_u32 s20, s20, 1
	v_add_f32_e32 v23, v21, v23
	s_addc_u32 s21, s21, 0
	s_add_u32 s22, s22, 1
	s_addc_u32 s23, s23, 0
	s_cmp_eq_u64 s[2:3], s[6:7]
	global_store_dword v[19:20], v23, off
	v_add_co_u32 v19, vcc_lo, v19, s0
	v_add_co_ci_u32_e64 v20, null, s1, v20, vcc_lo
	s_cbranch_scc0 .LBB16_5
.LBB16_6:
	s_endpgm
	.section	.rodata,"a",@progbits
	.p2align	6, 0x0
	.amdhsa_kernel _ZL12ssm_conv_f32ILb0ELm128ELm9EEvPKfS1_S1_iiiiPfiiil
		.amdhsa_group_segment_fixed_size 0
		.amdhsa_private_segment_fixed_size 0
		.amdhsa_kernarg_size 72
		.amdhsa_user_sgpr_count 6
		.amdhsa_user_sgpr_private_segment_buffer 1
		.amdhsa_user_sgpr_dispatch_ptr 0
		.amdhsa_user_sgpr_queue_ptr 0
		.amdhsa_user_sgpr_kernarg_segment_ptr 1
		.amdhsa_user_sgpr_dispatch_id 0
		.amdhsa_user_sgpr_flat_scratch_init 0
		.amdhsa_user_sgpr_private_segment_size 0
		.amdhsa_wavefront_size32 1
		.amdhsa_uses_dynamic_stack 0
		.amdhsa_system_sgpr_private_segment_wavefront_offset 0
		.amdhsa_system_sgpr_workgroup_id_x 1
		.amdhsa_system_sgpr_workgroup_id_y 1
		.amdhsa_system_sgpr_workgroup_id_z 0
		.amdhsa_system_sgpr_workgroup_info 0
		.amdhsa_system_vgpr_workitem_id 0
		.amdhsa_next_free_vgpr 30
		.amdhsa_next_free_sgpr 95
		.amdhsa_reserve_vcc 1
		.amdhsa_reserve_flat_scratch 0
		.amdhsa_float_round_mode_32 0
		.amdhsa_float_round_mode_16_64 0
		.amdhsa_float_denorm_mode_32 3
		.amdhsa_float_denorm_mode_16_64 3
		.amdhsa_dx10_clamp 1
		.amdhsa_ieee_mode 1
		.amdhsa_fp16_overflow 0
		.amdhsa_workgroup_processor_mode 1
		.amdhsa_memory_ordered 1
		.amdhsa_forward_progress 1
		.amdhsa_shared_vgpr_count 0
		.amdhsa_exception_fp_ieee_invalid_op 0
		.amdhsa_exception_fp_denorm_src 0
		.amdhsa_exception_fp_ieee_div_zero 0
		.amdhsa_exception_fp_ieee_overflow 0
		.amdhsa_exception_fp_ieee_underflow 0
		.amdhsa_exception_fp_ieee_inexact 0
		.amdhsa_exception_int_div_zero 0
	.end_amdhsa_kernel
	.section	.text._ZL12ssm_conv_f32ILb0ELm128ELm9EEvPKfS1_S1_iiiiPfiiil,"axG",@progbits,_ZL12ssm_conv_f32ILb0ELm128ELm9EEvPKfS1_S1_iiiiPfiiil,comdat
.Lfunc_end16:
	.size	_ZL12ssm_conv_f32ILb0ELm128ELm9EEvPKfS1_S1_iiiiPfiiil, .Lfunc_end16-_ZL12ssm_conv_f32ILb0ELm128ELm9EEvPKfS1_S1_iiiiPfiiil
                                        ; -- End function
	.set _ZL12ssm_conv_f32ILb0ELm128ELm9EEvPKfS1_S1_iiiiPfiiil.num_vgpr, 30
	.set _ZL12ssm_conv_f32ILb0ELm128ELm9EEvPKfS1_S1_iiiiPfiiil.num_agpr, 0
	.set _ZL12ssm_conv_f32ILb0ELm128ELm9EEvPKfS1_S1_iiiiPfiiil.numbered_sgpr, 95
	.set _ZL12ssm_conv_f32ILb0ELm128ELm9EEvPKfS1_S1_iiiiPfiiil.num_named_barrier, 0
	.set _ZL12ssm_conv_f32ILb0ELm128ELm9EEvPKfS1_S1_iiiiPfiiil.private_seg_size, 0
	.set _ZL12ssm_conv_f32ILb0ELm128ELm9EEvPKfS1_S1_iiiiPfiiil.uses_vcc, 1
	.set _ZL12ssm_conv_f32ILb0ELm128ELm9EEvPKfS1_S1_iiiiPfiiil.uses_flat_scratch, 0
	.set _ZL12ssm_conv_f32ILb0ELm128ELm9EEvPKfS1_S1_iiiiPfiiil.has_dyn_sized_stack, 0
	.set _ZL12ssm_conv_f32ILb0ELm128ELm9EEvPKfS1_S1_iiiiPfiiil.has_recursion, 0
	.set _ZL12ssm_conv_f32ILb0ELm128ELm9EEvPKfS1_S1_iiiiPfiiil.has_indirect_call, 0
	.section	.AMDGPU.csdata,"",@progbits
; Kernel info:
; codeLenInByte = 1924
; TotalNumSgprs: 97
; NumVgprs: 30
; ScratchSize: 0
; MemoryBound: 0
; FloatMode: 240
; IeeeMode: 1
; LDSByteSize: 0 bytes/workgroup (compile time only)
; SGPRBlocks: 0
; VGPRBlocks: 3
; NumSGPRsForWavesPerEU: 97
; NumVGPRsForWavesPerEU: 30
; Occupancy: 16
; WaveLimiterHint : 0
; COMPUTE_PGM_RSRC2:SCRATCH_EN: 0
; COMPUTE_PGM_RSRC2:USER_SGPR: 6
; COMPUTE_PGM_RSRC2:TRAP_HANDLER: 0
; COMPUTE_PGM_RSRC2:TGID_X_EN: 1
; COMPUTE_PGM_RSRC2:TGID_Y_EN: 1
; COMPUTE_PGM_RSRC2:TGID_Z_EN: 0
; COMPUTE_PGM_RSRC2:TIDIG_COMP_CNT: 0
	.section	.text._ZL23ssm_conv_long_token_f32ILb0ELm128ELm9ELl32EEvPKfS1_S1_iiiiPfiiil,"axG",@progbits,_ZL23ssm_conv_long_token_f32ILb0ELm128ELm9ELl32EEvPKfS1_S1_iiiiPfiiil,comdat
	.globl	_ZL23ssm_conv_long_token_f32ILb0ELm128ELm9ELl32EEvPKfS1_S1_iiiiPfiiil ; -- Begin function _ZL23ssm_conv_long_token_f32ILb0ELm128ELm9ELl32EEvPKfS1_S1_iiiiPfiiil
	.p2align	8
	.type	_ZL23ssm_conv_long_token_f32ILb0ELm128ELm9ELl32EEvPKfS1_S1_iiiiPfiiil,@function
_ZL23ssm_conv_long_token_f32ILb0ELm128ELm9ELl32EEvPKfS1_S1_iiiiPfiiil: ; @_ZL23ssm_conv_long_token_f32ILb0ELm128ELm9ELl32EEvPKfS1_S1_iiiiPfiiil
; %bb.0:
	v_mul_u32_u24_e32 v1, 0x667, v0
	s_clause 0x1
	s_load_dwordx4 s[0:3], s[4:5], 0x18
	s_load_dwordx2 s[12:13], s[4:5], 0x0
	s_mov_b32 s10, s7
	v_lshrrev_b32_e32 v17, 16, v1
	v_mul_lo_u16 v1, v17, 40
	v_sub_nc_u16 v1, v0, v1
	v_or_b32_e32 v2, 0x80, v1
	v_and_b32_e32 v14, 0xffff, v1
	s_waitcnt lgkmcnt(0)
	s_mul_i32 s2, s2, s6
	s_ashr_i32 s7, s2, 31
	v_mul_lo_u16 v3, 0xcd, v2
	s_add_u32 s2, s12, s2
	s_addc_u32 s7, s13, s7
	s_ashr_i32 s11, s10, 31
	s_ashr_i32 s9, s1, 31
	v_lshrrev_b16 v3, 13, v3
	s_lshl_b64 s[12:13], s[10:11], 7
	s_lshr_b64 s[10:11], s[10:11], 25
	s_mul_i32 s9, s12, s9
	s_mul_hi_u32 s11, s12, s1
	v_mul_lo_u16 v4, v3, 40
	s_mul_i32 s10, s10, s1
	s_add_i32 s9, s11, s9
	s_mul_i32 s11, s12, s1
	s_add_i32 s9, s9, s10
	v_sub_nc_u16 v2, v2, v4
	s_add_u32 s2, s2, s11
	s_addc_u32 s7, s7, s9
	s_ashr_i32 s9, s8, 31
	s_ashr_i32 s10, s0, 31
	v_and_b32_e32 v5, 0xff, v2
	s_lshl_b64 s[14:15], s[8:9], 5
	s_lshr_b64 s[8:9], s[8:9], 27
	s_mul_i32 s9, s14, s10
	s_mul_hi_u32 s10, s14, s0
	v_or_b32_e32 v2, 0x80, v5
	s_mul_i32 s8, s8, s0
	s_add_i32 s9, s10, s9
	s_mul_i32 s0, s14, s0
	s_add_i32 s9, s9, s8
	v_mul_lo_u16 v4, 0xcd, v2
	s_add_u32 s0, s2, s0
	s_addc_u32 s2, s7, s9
	s_ashr_i32 s1, s1, 2
	v_add_nc_u32_sdwa v27, v17, v3 dst_sel:DWORD dst_unused:UNUSED_PAD src0_sel:DWORD src1_sel:WORD_0
	v_lshrrev_b16 v6, 13, v4
	s_mov_b32 s7, exec_lo
	v_mul_lo_u16 v4, v6, 40
	v_add_nc_u32_sdwa v28, v27, v6 dst_sel:DWORD dst_unused:UNUSED_PAD src0_sel:DWORD src1_sel:WORD_0
	v_sub_nc_u16 v2, v2, v4
	v_and_b32_e32 v7, 0xff, v2
	v_or_b32_e32 v2, 0x80, v7
	v_mul_lo_u16 v4, 0xcd, v2
	v_lshrrev_b16 v8, 13, v4
	v_mul_lo_u16 v4, v8, 40
	v_mad_u64_u32 v[18:19], null, v28, s1, v[7:8]
	v_add_nc_u32_sdwa v33, v28, v8 dst_sel:DWORD dst_unused:UNUSED_PAD src0_sel:DWORD src1_sel:WORD_0
	v_mul_u32_u24_e32 v28, 0xa0, v28
	v_sub_nc_u16 v2, v2, v4
	v_lshlrev_b32_e32 v7, 2, v7
	v_ashrrev_i32_e32 v19, 31, v18
	v_and_b32_e32 v9, 0xff, v2
	v_add3_u32 v46, 0, v28, v7
	v_or_b32_e32 v2, 0x80, v9
	v_mul_lo_u16 v4, 0xcd, v2
	v_lshrrev_b16 v10, 13, v4
	v_mul_lo_u16 v4, v10, 40
	v_mad_u64_u32 v[20:21], null, v33, s1, v[9:10]
	v_add_nc_u32_sdwa v34, v33, v10 dst_sel:DWORD dst_unused:UNUSED_PAD src0_sel:DWORD src1_sel:WORD_0
	v_lshlrev_b32_e32 v9, 2, v9
	v_sub_nc_u16 v2, v2, v4
	v_ashrrev_i32_e32 v21, 31, v20
	v_and_b32_e32 v12, 0xff, v2
	v_or_b32_e32 v2, 0x80, v12
	v_mul_lo_u16 v4, 0xcd, v2
	v_lshrrev_b16 v23, 13, v4
	v_mul_lo_u16 v4, v23, 40
	v_add_nc_u32_sdwa v35, v34, v23 dst_sel:DWORD dst_unused:UNUSED_PAD src0_sel:DWORD src1_sel:WORD_0
	v_sub_nc_u16 v2, v2, v4
	v_mul_u32_u24_e32 v7, 0xa0, v35
	v_and_b32_e32 v11, 0xff, v2
	v_or_b32_e32 v2, 0x80, v11
	v_mul_lo_u16 v4, 0xcd, v2
	v_lshrrev_b16 v24, 13, v4
	v_mad_u64_u32 v[3:4], null, v27, s1, v[5:6]
	v_mul_lo_u16 v1, v24, 40
	v_add_nc_u32_sdwa v37, v35, v24 dst_sel:DWORD dst_unused:UNUSED_PAD src0_sel:DWORD src1_sel:WORD_0
	v_sub_nc_u16 v1, v2, v1
	v_and_b32_e32 v13, 0xff, v1
	v_or_b32_e32 v15, 0x80, v13
	v_mul_lo_u16 v1, 0xcd, v15
	v_lshrrev_b16 v29, 13, v1
	v_mad_u64_u32 v[1:2], null, s1, v17, v[14:15]
	v_mul_lo_u16 v2, v29, 40
	v_add_nc_u32_sdwa v38, v37, v29 dst_sel:DWORD dst_unused:UNUSED_PAD src0_sel:DWORD src1_sel:WORD_0
	v_sub_nc_u16 v4, v15, v2
	v_ashrrev_i32_e32 v2, 31, v1
	v_and_b32_e32 v15, 0xff, v4
	v_ashrrev_i32_e32 v4, 31, v3
	v_lshlrev_b64 v[1:2], 2, v[1:2]
	v_or_b32_e32 v6, 0x80, v15
	v_lshlrev_b64 v[3:4], 2, v[3:4]
	v_add_co_u32 v1, vcc_lo, s0, v1
	v_mul_lo_u16 v8, 0xcd, v6
	v_add_co_ci_u32_e64 v2, null, s2, v2, vcc_lo
	v_add_co_u32 v3, vcc_lo, s0, v3
	v_lshrrev_b16 v8, 13, v8
	v_add_co_ci_u32_e64 v4, null, s2, v4, vcc_lo
	global_load_dword v25, v[1:2], off
	v_mul_lo_u16 v16, v8, 40
	global_load_dword v26, v[3:4], off
	v_lshlrev_b64 v[1:2], 2, v[18:19]
	v_sub_nc_u16 v3, v6, v16
	v_add_co_u32 v1, vcc_lo, s0, v1
	v_and_b32_e32 v16, 0xff, v3
	v_lshlrev_b64 v[3:4], 2, v[20:21]
	v_mad_u64_u32 v[21:22], null, v34, s1, v[12:13]
	v_add_co_ci_u32_e64 v2, null, s2, v2, vcc_lo
	v_or_b32_e32 v6, 0x80, v16
	v_mad_u64_u32 v[29:30], null, v38, s1, v[15:16]
	global_load_dword v18, v[1:2], off
	v_add_co_u32 v1, vcc_lo, s0, v3
	v_mul_lo_u16 v3, 0xcd, v6
	v_add_co_ci_u32_e64 v2, null, s2, v4, vcc_lo
	v_ashrrev_i32_e32 v22, 31, v21
	v_ashrrev_i32_e32 v30, 31, v29
	v_lshrrev_b16 v36, 13, v3
	global_load_dword v20, v[1:2], off
	v_mad_u64_u32 v[3:4], null, v35, s1, v[11:12]
	v_lshlrev_b64 v[1:2], 2, v[21:22]
	v_mul_lo_u16 v4, v36, 40
	v_mad_u64_u32 v[21:22], null, v37, s1, v[13:14]
	v_lshlrev_b32_e32 v14, 2, v14
	v_lshlrev_b32_e32 v12, 2, v12
	v_add_co_u32 v1, vcc_lo, s0, v1
	v_add_co_ci_u32_e64 v2, null, s2, v2, vcc_lo
	v_sub_nc_u16 v6, v6, v4
	v_ashrrev_i32_e32 v4, 31, v3
	v_ashrrev_i32_e32 v22, 31, v21
	global_load_dword v24, v[1:2], off
	v_lshlrev_b32_e32 v13, 2, v13
	v_and_b32_e32 v1, 0xff, v6
	v_lshlrev_b64 v[2:3], 2, v[3:4]
	v_lshlrev_b64 v[21:22], 2, v[21:22]
	v_or_b32_e32 v4, 0x80, v1
	v_add_co_u32 v2, vcc_lo, s0, v2
	v_add_co_ci_u32_e64 v3, null, s2, v3, vcc_lo
	v_mul_lo_u16 v6, 0xcd, v4
	v_add_co_u32 v31, vcc_lo, s0, v21
	v_add_co_ci_u32_e64 v32, null, s2, v22, vcc_lo
	v_lshrrev_b16 v39, 13, v6
	s_clause 0x1
	global_load_dword v22, v[2:3], off
	global_load_dword v21, v[31:32], off
	v_lshlrev_b64 v[2:3], 2, v[29:30]
	v_mul_lo_u16 v6, v39, 40
	v_add_nc_u32_sdwa v31, v38, v8 dst_sel:DWORD dst_unused:UNUSED_PAD src0_sel:DWORD src1_sel:WORD_0
	v_sub_nc_u16 v4, v4, v6
	v_add_co_u32 v29, vcc_lo, s0, v2
	v_add_co_ci_u32_e64 v30, null, s2, v3, vcc_lo
	v_and_b32_e32 v2, 0xff, v4
	v_mad_u64_u32 v[3:4], null, v31, s1, v[16:17]
	global_load_dword v23, v[29:30], off
	v_mul_u32_u24_e32 v17, 0xa0, v17
	v_or_b32_e32 v6, 0x80, v2
	v_ashrrev_i32_e32 v4, 31, v3
	v_mul_lo_u16 v8, 0xcd, v6
	v_add3_u32 v45, 0, v17, v14
	v_mul_u32_u24_e32 v14, 0xa0, v27
	v_lshlrev_b32_e32 v27, 2, v5
	v_lshlrev_b64 v[3:4], 2, v[3:4]
	v_add_co_u32 v3, vcc_lo, s0, v3
	v_add_co_ci_u32_e64 v4, null, s2, v4, vcc_lo
	global_load_dword v19, v[3:4], off
	v_lshrrev_b16 v29, 13, v8
	v_mul_lo_u16 v8, v29, 40
	v_sub_nc_u16 v6, v6, v8
	v_and_b32_e32 v3, 0xff, v6
	v_or_b32_e32 v4, 0x80, v3
	v_mul_lo_u16 v6, 0xcd, v4
	v_lshrrev_b16 v32, 13, v6
	v_mul_lo_u16 v6, v32, 40
	v_sub_nc_u16 v4, v4, v6
	v_and_b32_e32 v4, 0xff, v4
	v_or_b32_e32 v6, 0x80, v4
	v_mul_lo_u16 v8, 0xcd, v6
	;; [unrolled: 6-line block ×5, first 2 shown]
	v_lshrrev_b16 v43, 13, v43
	v_mul_lo_u16 v44, v43, 40
	v_sub_nc_u16 v17, v30, v44
	v_mul_u32_u24_e32 v30, 0xa0, v33
	v_add3_u32 v44, 0, v14, v27
	v_lshlrev_b32_e32 v14, 2, v11
	v_add_nc_u32_sdwa v11, v31, v36 dst_sel:DWORD dst_unused:UNUSED_PAD src0_sel:DWORD src1_sel:WORD_0
	v_and_b32_e32 v5, 0xff, v17
	v_mul_u32_u24_e32 v17, 0xa0, v34
	v_add3_u32 v47, 0, v30, v9
	v_or_b32_e32 v27, 0x80, v5
	v_add3_u32 v48, 0, v17, v12
	v_mul_lo_u32 v12, 0xa0, v37
	v_mul_lo_u32 v17, 0xa0, v38
	v_add3_u32 v38, 0, v7, v14
	v_mul_lo_u16 v9, 0xcd, v27
	v_lshrrev_b16 v37, 13, v9
	v_lshlrev_b32_e32 v9, 2, v15
	v_add3_u32 v49, 0, v12, v13
	v_add_nc_u32_sdwa v12, v11, v39 dst_sel:DWORD dst_unused:UNUSED_PAD src0_sel:DWORD src1_sel:WORD_0
	v_mad_u64_u32 v[14:15], null, v11, s1, v[1:2]
	v_mul_lo_u16 v7, v37, 40
	v_add3_u32 v50, 0, v17, v9
	v_mul_lo_u32 v9, 0xa0, v31
	v_add_nc_u32_sdwa v13, v12, v29 dst_sel:DWORD dst_unused:UNUSED_PAD src0_sel:DWORD src1_sel:WORD_0
	v_lshlrev_b32_e32 v29, 2, v16
	v_sub_nc_u16 v7, v27, v7
	v_mad_u64_u32 v[27:28], null, v12, s1, v[2:3]
	v_mad_u64_u32 v[16:17], null, v13, s1, v[3:4]
	v_and_b32_e32 v7, 0xff, v7
	v_add3_u32 v39, 0, v9, v29
	v_ashrrev_i32_e32 v15, 31, v14
	v_lshlrev_b32_e32 v1, 2, v1
	v_ashrrev_i32_e32 v28, 31, v27
	v_or_b32_e32 v33, 0x80, v7
	v_ashrrev_i32_e32 v17, 31, v16
	v_lshlrev_b64 v[29:30], 2, v[14:15]
	v_add_nc_u32_sdwa v14, v13, v32 dst_sel:DWORD dst_unused:UNUSED_PAD src0_sel:DWORD src1_sel:WORD_0
	v_lshlrev_b64 v[27:28], 2, v[27:28]
	v_mul_lo_u16 v9, 0xcd, v33
	v_lshlrev_b64 v[15:16], 2, v[16:17]
	v_lshlrev_b32_e32 v2, 2, v2
	v_mad_u64_u32 v[31:32], null, v14, s1, v[4:5]
	v_lshrrev_b16 v51, 13, v9
	v_add_co_u32 v29, vcc_lo, s0, v29
	v_add_co_ci_u32_e64 v30, null, s2, v30, vcc_lo
	v_mul_lo_u16 v9, v51, 40
	v_add_co_u32 v27, vcc_lo, s0, v27
	v_add_co_ci_u32_e64 v28, null, s2, v28, vcc_lo
	v_sub_nc_u16 v9, v33, v9
	v_add_co_u32 v33, vcc_lo, s0, v15
	v_add_nc_u32_sdwa v15, v14, v40 dst_sel:DWORD dst_unused:UNUSED_PAD src0_sel:DWORD src1_sel:WORD_0
	v_ashrrev_i32_e32 v32, 31, v31
	v_and_b32_e32 v9, 0xff, v9
	v_add_co_ci_u32_e64 v34, null, s2, v16, vcc_lo
	v_mad_u64_u32 v[35:36], null, v15, s1, v[6:7]
	v_lshlrev_b64 v[31:32], 2, v[31:32]
	v_or_b32_e32 v40, 0x80, v9
	v_add_nc_u32_sdwa v16, v15, v41 dst_sel:DWORD dst_unused:UNUSED_PAD src0_sel:DWORD src1_sel:WORD_0
	s_waitcnt vmcnt(8)
	ds_write_b32 v45, v25
	s_waitcnt vmcnt(7)
	ds_write_b32 v44, v26
	v_lshlrev_b32_e32 v3, 2, v3
	v_ashrrev_i32_e32 v36, 31, v35
	v_mul_lo_u16 v17, 0xcd, v40
	v_add_co_u32 v25, vcc_lo, s0, v31
	v_add_co_ci_u32_e64 v26, null, s2, v32, vcc_lo
	v_add_nc_u32_sdwa v54, v16, v42 dst_sel:DWORD dst_unused:UNUSED_PAD src0_sel:DWORD src1_sel:WORD_0
	s_clause 0x3
	global_load_dword v44, v[29:30], off
	global_load_dword v45, v[27:28], off
	;; [unrolled: 1-line block ×4, first 2 shown]
	v_lshlrev_b64 v[25:26], 2, v[35:36]
	v_lshrrev_b16 v35, 13, v17
	s_waitcnt vmcnt(10)
	ds_write_b32 v46, v18
	v_mad_u64_u32 v[17:18], null, v54, s1, v[10:11]
	v_mad_u64_u32 v[31:32], null, v16, s1, v[8:9]
	v_mul_lo_u16 v18, v35, 40
	s_waitcnt vmcnt(9)
	ds_write_b32 v47, v20
	v_add_nc_u32_sdwa v46, v54, v43 dst_sel:DWORD dst_unused:UNUSED_PAD src0_sel:DWORD src1_sel:WORD_0
	v_add_co_u32 v25, vcc_lo, s0, v25
	v_sub_nc_u16 v29, v40, v18
	v_ashrrev_i32_e32 v32, 31, v31
	v_ashrrev_i32_e32 v18, 31, v17
	v_add_nc_u32_sdwa v47, v46, v37 dst_sel:DWORD dst_unused:UNUSED_PAD src0_sel:DWORD src1_sel:WORD_0
	s_waitcnt vmcnt(8)
	ds_write_b32 v48, v24
	v_and_b32_e32 v20, 0xff, v29
	v_lshlrev_b64 v[27:28], 2, v[31:32]
	v_lshlrev_b64 v[17:18], 2, v[17:18]
	v_add_nc_u32_sdwa v48, v47, v51 dst_sel:DWORD dst_unused:UNUSED_PAD src0_sel:DWORD src1_sel:WORD_0
	v_add_co_ci_u32_e64 v26, null, s2, v26, vcc_lo
	v_or_b32_e32 v36, 0x80, v20
	v_add_co_u32 v27, vcc_lo, s0, v27
	v_mad_u64_u32 v[29:30], null, v46, s1, v[5:6]
	v_mul_lo_u16 v24, 0xcd, v36
	v_add_co_ci_u32_e64 v28, null, s2, v28, vcc_lo
	v_mad_u64_u32 v[31:32], null, v47, s1, v[7:8]
	v_add_co_u32 v17, vcc_lo, s0, v17
	v_add_co_ci_u32_e64 v18, null, s2, v18, vcc_lo
	v_lshrrev_b16 v37, 13, v24
	v_mad_u64_u32 v[33:34], null, v48, s1, v[9:10]
	v_ashrrev_i32_e32 v30, 31, v29
	s_clause 0x2
	global_load_dword v51, v[25:26], off
	global_load_dword v55, v[27:28], off
	;; [unrolled: 1-line block ×3, first 2 shown]
	v_mul_lo_u16 v26, v37, 40
	v_ashrrev_i32_e32 v32, 31, v31
	v_ashrrev_i32_e32 v34, 31, v33
	v_lshlrev_b64 v[24:25], 2, v[29:30]
	s_waitcnt vmcnt(10)
	ds_write_b32 v38, v22
	v_sub_nc_u16 v26, v36, v26
	v_lshlrev_b64 v[29:30], 2, v[31:32]
	s_waitcnt vmcnt(9)
	ds_write_b32 v49, v21
	v_lshlrev_b64 v[21:22], 2, v[33:34]
	v_add_co_u32 v24, vcc_lo, s0, v24
	v_and_b32_e32 v26, 0xff, v26
	v_add_co_ci_u32_e64 v25, null, s2, v25, vcc_lo
	v_add_co_u32 v29, vcc_lo, s0, v29
	v_add_co_ci_u32_e64 v30, null, s2, v30, vcc_lo
	v_add_nc_u32_sdwa v49, v48, v35 dst_sel:DWORD dst_unused:UNUSED_PAD src0_sel:DWORD src1_sel:WORD_0
	v_add_co_u32 v21, vcc_lo, s0, v21
	s_waitcnt vmcnt(8)
	ds_write_b32 v50, v23
	v_or_b32_e32 v23, 0x80, v26
	v_add_nc_u32_sdwa v50, v49, v37 dst_sel:DWORD dst_unused:UNUSED_PAD src0_sel:DWORD src1_sel:WORD_0
	v_mad_u64_u32 v[31:32], null, v49, s1, v[20:21]
	v_add_co_ci_u32_e64 v22, null, s2, v22, vcc_lo
	v_mul_lo_u16 v32, 0xcd, v23
	v_mad_u64_u32 v[33:34], null, v50, s1, v[26:27]
	s_waitcnt vmcnt(7)
	ds_write_b32 v39, v19
	v_mul_lo_u32 v11, 0xa0, v11
	v_lshrrev_b16 v35, 13, v32
	v_ashrrev_i32_e32 v32, 31, v31
	v_lshlrev_b32_e32 v4, 2, v4
	v_lshlrev_b32_e32 v6, 2, v6
	v_ashrrev_i32_e32 v34, 31, v33
	v_mul_lo_u16 v36, v35, 40
	v_add_nc_u32_sdwa v57, v50, v35 dst_sel:DWORD dst_unused:UNUSED_PAD src0_sel:DWORD src1_sel:WORD_0
	v_lshlrev_b64 v[27:28], 2, v[31:32]
	v_add3_u32 v1, 0, v11, v1
	v_lshlrev_b64 v[17:18], 2, v[33:34]
	v_sub_nc_u16 v19, v23, v36
	v_mul_lo_u32 v11, 0xa0, v12
	v_add_co_u32 v27, vcc_lo, s0, v27
	v_and_b32_e32 v19, 0xff, v19
	v_add_co_ci_u32_e64 v28, null, s2, v28, vcc_lo
	v_add_co_u32 v17, vcc_lo, s0, v17
	v_or_b32_e32 v23, 0x80, v19
	v_mad_u64_u32 v[31:32], null, v57, s1, v[19:20]
	v_add_co_ci_u32_e64 v18, null, s2, v18, vcc_lo
	v_mul_lo_u16 v33, 0xcd, v23
	v_add3_u32 v2, 0, v11, v2
	v_mul_lo_u32 v11, 0xa0, v13
	v_ashrrev_i32_e32 v32, 31, v31
	v_lshrrev_b16 v33, 13, v33
	v_lshlrev_b64 v[31:32], 2, v[31:32]
	v_mul_lo_u16 v34, v33, 40
	v_add_nc_u32_sdwa v58, v57, v33 dst_sel:DWORD dst_unused:UNUSED_PAD src0_sel:DWORD src1_sel:WORD_0
	v_add3_u32 v3, 0, v11, v3
	v_mul_lo_u32 v11, 0xa0, v14
	v_sub_nc_u16 v23, v23, v34
	v_add_co_u32 v31, vcc_lo, s0, v31
	v_add_co_ci_u32_e64 v32, null, s2, v32, vcc_lo
	v_and_b32_e32 v23, 0xff, v23
	v_add3_u32 v4, 0, v11, v4
	v_mul_lo_u32 v11, 0xa0, v15
	v_or_b32_e32 v35, 0x80, v23
	v_mad_u64_u32 v[33:34], null, v58, s1, v[23:24]
	v_mul_lo_u16 v36, 0xcd, v35
	v_ashrrev_i32_e32 v34, 31, v33
	v_lshrrev_b16 v36, 13, v36
	v_lshlrev_b64 v[33:34], 2, v[33:34]
	v_mul_lo_u16 v37, v36, 40
	v_add_nc_u32_sdwa v59, v58, v36 dst_sel:DWORD dst_unused:UNUSED_PAD src0_sel:DWORD src1_sel:WORD_0
	v_sub_nc_u16 v35, v35, v37
	v_add_co_u32 v33, vcc_lo, s0, v33
	v_add_co_ci_u32_e64 v34, null, s2, v34, vcc_lo
	v_and_b32_e32 v35, 0xff, v35
	v_or_b32_e32 v38, 0x80, v35
	v_mad_u64_u32 v[36:37], null, v59, s1, v[35:36]
	v_mul_lo_u16 v39, 0xcd, v38
	v_ashrrev_i32_e32 v37, 31, v36
	v_lshrrev_b16 v39, 13, v39
	v_lshlrev_b64 v[36:37], 2, v[36:37]
	v_mul_lo_u16 v40, v39, 40
	v_add_nc_u32_sdwa v60, v59, v39 dst_sel:DWORD dst_unused:UNUSED_PAD src0_sel:DWORD src1_sel:WORD_0
	v_sub_nc_u16 v38, v38, v40
	v_add_co_u32 v36, vcc_lo, s0, v36
	v_add_co_ci_u32_e64 v37, null, s2, v37, vcc_lo
	v_and_b32_e32 v38, 0xff, v38
	;; [unrolled: 12-line block ×3, first 2 shown]
	v_mad_u64_u32 v[42:43], null, v61, s1, v[41:42]
	v_ashrrev_i32_e32 v43, 31, v42
	v_lshlrev_b64 v[42:43], 2, v[42:43]
	v_add_co_u32 v42, vcc_lo, s0, v42
	v_add_co_ci_u32_e64 v43, null, s2, v43, vcc_lo
	s_clause 0x9
	global_load_dword v24, v[24:25], off
	global_load_dword v25, v[29:30], off
	;; [unrolled: 1-line block ×10, first 2 shown]
	s_waitcnt vmcnt(16)
	ds_write_b32 v1, v44
	s_waitcnt vmcnt(15)
	ds_write_b32 v2, v45
	;; [unrolled: 2-line block ×4, first 2 shown]
	v_mul_lo_u32 v2, 0xa0, v16
	v_mul_lo_u32 v4, 0xa0, v54
	v_add3_u32 v1, 0, v11, v6
	v_lshlrev_b32_e32 v3, 2, v8
	v_lshlrev_b32_e32 v6, 2, v10
	v_mul_lo_u32 v8, 0xa0, v46
	v_mul_lo_u32 v10, 0xa0, v47
	v_add3_u32 v2, 0, v2, v3
	v_add3_u32 v3, 0, v4, v6
	v_mul_lo_u32 v4, 0xa0, v48
	v_lshlrev_b32_e32 v6, 2, v9
	v_lshlrev_b32_e32 v9, 2, v38
	s_waitcnt vmcnt(12)
	ds_write_b32 v1, v51
	v_lshlrev_b32_e32 v1, 2, v5
	v_lshlrev_b32_e32 v5, 2, v7
	;; [unrolled: 1-line block ×3, first 2 shown]
	v_add3_u32 v1, 0, v8, v1
	v_add3_u32 v5, 0, v10, v5
	v_lshlrev_b32_e32 v8, 2, v35
	v_lshlrev_b32_e32 v10, 2, v41
	s_waitcnt vmcnt(11)
	ds_write_b32 v2, v55
	s_waitcnt vmcnt(10)
	ds_write_b32 v3, v56
	;; [unrolled: 2-line block ×4, first 2 shown]
	v_add3_u32 v1, 0, v4, v6
	v_mul_lo_u32 v2, 0xa0, v49
	v_mul_lo_u32 v3, 0xa0, v50
	v_lshlrev_b32_e32 v4, 2, v20
	v_lshlrev_b32_e32 v5, 2, v26
	s_waitcnt vmcnt(7)
	ds_write_b32 v1, v21
	v_or_b32_e32 v1, 0x80, v41
	v_mul_lo_u32 v6, 0xa0, v57
	v_add3_u32 v2, 0, v2, v4
	v_add3_u32 v3, 0, v3, v5
	v_mul_lo_u16 v5, 0xcd, v1
	v_mul_lo_u32 v4, 0xa0, v58
	s_waitcnt vmcnt(6)
	ds_write_b32 v2, v22
	s_waitcnt vmcnt(5)
	ds_write_b32 v3, v17
	v_add3_u32 v6, 0, v6, v7
	v_lshrrev_b16 v2, 13, v5
	v_lshlrev_b32_e32 v7, 2, v23
	v_mul_lo_u32 v5, 0xa0, v60
	s_waitcnt vmcnt(4)
	ds_write_b32 v6, v18
	v_mul_lo_u16 v6, v2, 40
	v_add3_u32 v3, 0, v4, v7
	v_mul_lo_u32 v4, 0xa0, v59
	v_mul_lo_u32 v7, 0xa0, v61
	v_add_nc_u32_sdwa v2, v61, v2 dst_sel:DWORD dst_unused:UNUSED_PAD src0_sel:DWORD src1_sel:WORD_0
	v_sub_nc_u16 v1, v1, v6
	v_add3_u32 v5, 0, v5, v9
	v_and_b32_e32 v1, 0xff, v1
	v_add3_u32 v4, 0, v4, v8
	v_add3_u32 v6, 0, v7, v10
	s_waitcnt vmcnt(3)
	ds_write_b32 v3, v27
	s_waitcnt vmcnt(2)
	ds_write_b32 v4, v28
	s_waitcnt vmcnt(1)
	ds_write_b32 v5, v29
	s_waitcnt vmcnt(0)
	ds_write_b32 v6, v30
	v_cmpx_gt_u32_e32 0x80, v2
	s_cbranch_execz .LBB17_2
; %bb.1:
	v_mad_u64_u32 v[3:4], null, v2, s1, v[1:2]
	v_lshlrev_b32_e32 v5, 2, v1
	v_ashrrev_i32_e32 v4, 31, v3
	v_lshlrev_b64 v[3:4], 2, v[3:4]
	v_add_co_u32 v3, vcc_lo, s0, v3
	v_add_co_ci_u32_e64 v4, null, s2, v4, vcc_lo
	global_load_dword v3, v[3:4], off
	v_mul_lo_u32 v4, 0xa0, v2
	v_add3_u32 v4, 0, v4, v5
	s_waitcnt vmcnt(0)
	ds_write_b32 v4, v3
.LBB17_2:
	s_or_b32 exec_lo, exec_lo, s7
	v_or_b32_e32 v1, 0x80, v1
	s_mov_b32 s7, exec_lo
	v_mul_lo_u16 v3, 0xcd, v1
	v_lshrrev_b16 v3, 13, v3
	v_mul_lo_u16 v4, v3, 40
	v_add_nc_u32_sdwa v2, v2, v3 dst_sel:DWORD dst_unused:UNUSED_PAD src0_sel:DWORD src1_sel:WORD_0
	v_sub_nc_u16 v1, v1, v4
	v_and_b32_e32 v1, 0xff, v1
	v_cmpx_gt_u32_e32 0x80, v2
	s_cbranch_execz .LBB17_4
; %bb.3:
	v_mad_u64_u32 v[3:4], null, v2, s1, v[1:2]
	v_lshlrev_b32_e32 v5, 2, v1
	v_ashrrev_i32_e32 v4, 31, v3
	v_lshlrev_b64 v[3:4], 2, v[3:4]
	v_add_co_u32 v3, vcc_lo, s0, v3
	v_add_co_ci_u32_e64 v4, null, s2, v4, vcc_lo
	global_load_dword v3, v[3:4], off
	v_mul_lo_u32 v4, 0xa0, v2
	v_add3_u32 v4, 0, v4, v5
	s_waitcnt vmcnt(0)
	ds_write_b32 v4, v3
.LBB17_4:
	s_or_b32 exec_lo, exec_lo, s7
	v_or_b32_e32 v1, 0x80, v1
	s_mov_b32 s7, exec_lo
	v_mul_lo_u16 v3, 0xcd, v1
	v_lshrrev_b16 v3, 13, v3
	v_mul_lo_u16 v4, v3, 40
	v_add_nc_u32_sdwa v2, v2, v3 dst_sel:DWORD dst_unused:UNUSED_PAD src0_sel:DWORD src1_sel:WORD_0
	v_sub_nc_u16 v1, v1, v4
	v_and_b32_e32 v1, 0xff, v1
	;; [unrolled: 24-line block ×6, first 2 shown]
	v_cmpx_gt_u32_e32 0x80, v2
	s_cbranch_execz .LBB17_14
; %bb.13:
	v_mad_u64_u32 v[3:4], null, v2, s1, v[1:2]
	v_lshlrev_b32_e32 v5, 2, v1
	v_ashrrev_i32_e32 v4, 31, v3
	v_lshlrev_b64 v[3:4], 2, v[3:4]
	v_add_co_u32 v3, vcc_lo, s0, v3
	v_add_co_ci_u32_e64 v4, null, s2, v4, vcc_lo
	global_load_dword v3, v[3:4], off
	v_mul_lo_u32 v4, 0xa0, v2
	v_add3_u32 v4, 0, v4, v5
	s_waitcnt vmcnt(0)
	ds_write_b32 v4, v3
.LBB17_14:
	s_or_b32 exec_lo, exec_lo, s7
	s_clause 0x1
	s_load_dwordx4 s[8:11], s[4:5], 0x8
	s_load_dwordx2 s[16:17], s[4:5], 0x28
	s_mov_b32 s7, exec_lo
	v_cmpx_gt_u32_e32 0x380, v0
	s_cbranch_execz .LBB17_35
; %bb.15:
	v_or_b32_e32 v1, 0x80, v1
	s_mov_b32 s18, exec_lo
	v_mul_lo_u16 v3, 0xcd, v1
	v_lshrrev_b16 v3, 13, v3
	v_mul_lo_u16 v4, v3, 40
	v_add_nc_u32_sdwa v2, v2, v3 dst_sel:DWORD dst_unused:UNUSED_PAD src0_sel:DWORD src1_sel:WORD_0
	v_sub_nc_u16 v1, v1, v4
	v_and_b32_e32 v1, 0xff, v1
	v_cmpx_gt_u32_e32 0x80, v2
	s_cbranch_execz .LBB17_17
; %bb.16:
	v_mad_u64_u32 v[3:4], null, v2, s1, v[1:2]
	v_lshlrev_b32_e32 v5, 2, v1
	v_ashrrev_i32_e32 v4, 31, v3
	v_lshlrev_b64 v[3:4], 2, v[3:4]
	v_add_co_u32 v3, vcc_lo, s0, v3
	v_add_co_ci_u32_e64 v4, null, s2, v4, vcc_lo
	global_load_dword v3, v[3:4], off
	v_mul_lo_u32 v4, 0xa0, v2
	v_add3_u32 v4, 0, v4, v5
	s_waitcnt vmcnt(0)
	ds_write_b32 v4, v3
.LBB17_17:
	s_or_b32 exec_lo, exec_lo, s18
	v_cmp_gt_u32_e32 vcc_lo, 0x300, v0
	s_and_b32 exec_lo, exec_lo, vcc_lo
	s_cbranch_execz .LBB17_35
; %bb.18:
	v_or_b32_e32 v1, 0x80, v1
	s_mov_b32 s18, exec_lo
	v_mul_lo_u16 v3, 0xcd, v1
	v_lshrrev_b16 v3, 13, v3
	v_mul_lo_u16 v4, v3, 40
	v_add_nc_u32_sdwa v2, v2, v3 dst_sel:DWORD dst_unused:UNUSED_PAD src0_sel:DWORD src1_sel:WORD_0
	v_sub_nc_u16 v1, v1, v4
	v_and_b32_e32 v1, 0xff, v1
	v_cmpx_gt_u32_e32 0x80, v2
	s_cbranch_execz .LBB17_20
; %bb.19:
	v_mad_u64_u32 v[3:4], null, v2, s1, v[1:2]
	v_lshlrev_b32_e32 v5, 2, v1
	v_ashrrev_i32_e32 v4, 31, v3
	v_lshlrev_b64 v[3:4], 2, v[3:4]
	v_add_co_u32 v3, vcc_lo, s0, v3
	v_add_co_ci_u32_e64 v4, null, s2, v4, vcc_lo
	global_load_dword v3, v[3:4], off
	v_mul_lo_u32 v4, 0xa0, v2
	v_add3_u32 v4, 0, v4, v5
	s_waitcnt vmcnt(0)
	ds_write_b32 v4, v3
.LBB17_20:
	s_or_b32 exec_lo, exec_lo, s18
	v_cmp_gt_u32_e32 vcc_lo, 0x280, v0
	s_and_b32 exec_lo, exec_lo, vcc_lo
	;; [unrolled: 28-line block ×6, first 2 shown]
	s_cbranch_execz .LBB17_35
; %bb.33:
	v_or_b32_e32 v3, 0x80, v1
	v_mul_lo_u16 v1, 0xcd, v3
	v_lshrrev_b16 v4, 13, v1
	v_add_nc_u32_sdwa v1, v2, v4 dst_sel:DWORD dst_unused:UNUSED_PAD src0_sel:DWORD src1_sel:WORD_0
	v_cmp_gt_u32_e32 vcc_lo, 0x80, v1
	s_and_b32 exec_lo, exec_lo, vcc_lo
	s_cbranch_execz .LBB17_35
; %bb.34:
	v_mul_lo_u16 v2, v4, 40
	v_sub_nc_u16 v2, v3, v2
	v_and_b32_e32 v2, 0xff, v2
	v_mad_u64_u32 v[3:4], null, v1, s1, v[2:3]
	v_mul_lo_u32 v1, 0xa0, v1
	v_lshlrev_b32_e32 v2, 2, v2
	v_ashrrev_i32_e32 v4, 31, v3
	v_add3_u32 v1, 0, v1, v2
	v_lshlrev_b64 v[3:4], 2, v[3:4]
	v_add_co_u32 v3, vcc_lo, s0, v3
	v_add_co_ci_u32_e64 v4, null, s2, v4, vcc_lo
	global_load_dword v3, v[3:4], off
	s_waitcnt vmcnt(0)
	ds_write_b32 v1, v3
.LBB17_35:
	s_or_b32 exec_lo, exec_lo, s7
	s_ashr_i32 s0, s3, 31
	s_mul_hi_u32 s1, s12, s3
	s_mul_i32 s0, s12, s0
	s_mul_i32 s2, s13, s3
	s_add_i32 s0, s1, s0
	s_mul_i32 s1, s12, s3
	s_add_i32 s0, s0, s2
	s_waitcnt lgkmcnt(0)
	s_add_u32 s1, s8, s1
	s_addc_u32 s0, s9, s0
	s_ashr_i32 s2, s3, 2
	v_mul_lo_u32 v1, s2, v0
	s_barrier
	buffer_gl0_inv
	v_lshlrev_b32_e32 v10, 2, v0
	s_cmp_eq_u64 s[10:11], 0
	v_ashrrev_i32_e32 v2, 31, v1
	v_lshlrev_b64 v[1:2], 2, v[1:2]
	v_add_co_u32 v5, vcc_lo, s1, v1
	v_add_co_ci_u32_e64 v6, null, s0, v2, vcc_lo
	s_clause 0x2
	global_load_dword v13, v[5:6], off offset:32
	global_load_dwordx4 v[1:4], v[5:6], off offset:16
	global_load_dwordx4 v[5:8], v[5:6], off
	s_cbranch_scc1 .LBB17_37
; %bb.36:
	s_lshl_b64 s[0:1], s[12:13], 2
	s_add_u32 s0, s10, s0
	s_addc_u32 s1, s11, s1
	global_load_dword v14, v10, s[0:1]
	s_branch .LBB17_38
.LBB17_37:
	v_mov_b32_e32 v14, 0
.LBB17_38:
	s_load_dwordx2 s[0:1], s[4:5], 0x40
	s_waitcnt lgkmcnt(0)
	s_sub_u32 s8, s0, s14
	s_subb_u32 s9, s1, s15
	v_cmp_lt_i64_e64 s0, s[8:9], 1
	s_and_b32 vcc_lo, exec_lo, s0
	s_cbranch_vccnz .LBB17_41
; %bb.39:
	s_load_dwordx4 s[0:3], s[4:5], 0x30
	v_mad_u32_u24 v0, 0xa0, v0, 0
	v_cmp_lt_u64_e64 s4, s[8:9], 32
	ds_read_b32 v9, v0
	s_waitcnt lgkmcnt(0)
	s_ashr_i32 s3, s1, 31
	s_ashr_i32 s11, s0, 31
	s_mul_i32 s5, s2, s6
	s_mul_hi_u32 s6, s14, s1
	s_mul_i32 s7, s15, s1
	s_mul_i32 s10, s14, s1
	s_mul_hi_u32 s15, s12, s0
	s_mul_i32 s13, s13, s0
	s_mul_i32 s18, s12, s0
	s_ashr_i32 s2, s1, 2
	s_mul_i32 s0, s14, s3
	s_mul_i32 s1, s12, s11
	s_add_i32 s0, s6, s0
	s_add_i32 s1, s15, s1
	s_ashr_i32 s19, s5, 31
	s_ashr_i32 s3, s2, 31
	s_add_i32 s6, s0, s7
	s_add_i32 s7, s1, s13
	s_and_b32 s0, s4, exec_lo
	s_cselect_b32 s1, s9, 0
	s_cselect_b32 s0, s8, 32
	s_add_u32 s4, s18, s10
	s_addc_u32 s6, s7, s6
	s_add_u32 s5, s16, s5
	s_addc_u32 s7, s17, s19
	;; [unrolled: 2-line block ×3, first 2 shown]
	v_add_co_u32 v11, s4, s4, v10
	v_add_co_ci_u32_e64 v12, null, s5, 0, s4
	s_lshl_b64 s[2:3], s[2:3], 2
	.p2align	6
.LBB17_40:                              ; =>This Inner Loop Header: Depth=1
	s_waitcnt vmcnt(0)
	v_fma_f32 v21, v5, v9, 0
	ds_read2_b32 v[9:10], v0 offset0:1 offset1:2
	ds_read2_b32 v[15:16], v0 offset0:3 offset1:4
	;; [unrolled: 1-line block ×4, first 2 shown]
	v_add_nc_u32_e32 v22, 4, v0
	s_add_u32 s0, s0, -1
	s_addc_u32 s1, s1, -1
	s_cmp_lg_u64 s[0:1], 0
	v_mov_b32_e32 v0, v22
	s_waitcnt lgkmcnt(3)
	v_fmac_f32_e32 v21, v6, v9
	v_fmac_f32_e32 v21, v7, v10
	s_waitcnt lgkmcnt(2)
	v_fmac_f32_e32 v21, v8, v15
	v_fmac_f32_e32 v21, v1, v16
	;; [unrolled: 3-line block ×4, first 2 shown]
	v_add_f32_e32 v10, v14, v21
	global_store_dword v[11:12], v10, off
	v_add_co_u32 v11, vcc_lo, v11, s2
	v_add_co_ci_u32_e64 v12, null, s3, v12, vcc_lo
	s_cbranch_scc1 .LBB17_40
.LBB17_41:
	s_endpgm
	.section	.rodata,"a",@progbits
	.p2align	6, 0x0
	.amdhsa_kernel _ZL23ssm_conv_long_token_f32ILb0ELm128ELm9ELl32EEvPKfS1_S1_iiiiPfiiil
		.amdhsa_group_segment_fixed_size 0
		.amdhsa_private_segment_fixed_size 0
		.amdhsa_kernarg_size 72
		.amdhsa_user_sgpr_count 6
		.amdhsa_user_sgpr_private_segment_buffer 1
		.amdhsa_user_sgpr_dispatch_ptr 0
		.amdhsa_user_sgpr_queue_ptr 0
		.amdhsa_user_sgpr_kernarg_segment_ptr 1
		.amdhsa_user_sgpr_dispatch_id 0
		.amdhsa_user_sgpr_flat_scratch_init 0
		.amdhsa_user_sgpr_private_segment_size 0
		.amdhsa_wavefront_size32 1
		.amdhsa_uses_dynamic_stack 0
		.amdhsa_system_sgpr_private_segment_wavefront_offset 0
		.amdhsa_system_sgpr_workgroup_id_x 1
		.amdhsa_system_sgpr_workgroup_id_y 1
		.amdhsa_system_sgpr_workgroup_id_z 1
		.amdhsa_system_sgpr_workgroup_info 0
		.amdhsa_system_vgpr_workitem_id 0
		.amdhsa_next_free_vgpr 62
		.amdhsa_next_free_sgpr 20
		.amdhsa_reserve_vcc 1
		.amdhsa_reserve_flat_scratch 0
		.amdhsa_float_round_mode_32 0
		.amdhsa_float_round_mode_16_64 0
		.amdhsa_float_denorm_mode_32 3
		.amdhsa_float_denorm_mode_16_64 3
		.amdhsa_dx10_clamp 1
		.amdhsa_ieee_mode 1
		.amdhsa_fp16_overflow 0
		.amdhsa_workgroup_processor_mode 1
		.amdhsa_memory_ordered 1
		.amdhsa_forward_progress 1
		.amdhsa_shared_vgpr_count 0
		.amdhsa_exception_fp_ieee_invalid_op 0
		.amdhsa_exception_fp_denorm_src 0
		.amdhsa_exception_fp_ieee_div_zero 0
		.amdhsa_exception_fp_ieee_overflow 0
		.amdhsa_exception_fp_ieee_underflow 0
		.amdhsa_exception_fp_ieee_inexact 0
		.amdhsa_exception_int_div_zero 0
	.end_amdhsa_kernel
	.section	.text._ZL23ssm_conv_long_token_f32ILb0ELm128ELm9ELl32EEvPKfS1_S1_iiiiPfiiil,"axG",@progbits,_ZL23ssm_conv_long_token_f32ILb0ELm128ELm9ELl32EEvPKfS1_S1_iiiiPfiiil,comdat
.Lfunc_end17:
	.size	_ZL23ssm_conv_long_token_f32ILb0ELm128ELm9ELl32EEvPKfS1_S1_iiiiPfiiil, .Lfunc_end17-_ZL23ssm_conv_long_token_f32ILb0ELm128ELm9ELl32EEvPKfS1_S1_iiiiPfiiil
                                        ; -- End function
	.set _ZL23ssm_conv_long_token_f32ILb0ELm128ELm9ELl32EEvPKfS1_S1_iiiiPfiiil.num_vgpr, 62
	.set _ZL23ssm_conv_long_token_f32ILb0ELm128ELm9ELl32EEvPKfS1_S1_iiiiPfiiil.num_agpr, 0
	.set _ZL23ssm_conv_long_token_f32ILb0ELm128ELm9ELl32EEvPKfS1_S1_iiiiPfiiil.numbered_sgpr, 20
	.set _ZL23ssm_conv_long_token_f32ILb0ELm128ELm9ELl32EEvPKfS1_S1_iiiiPfiiil.num_named_barrier, 0
	.set _ZL23ssm_conv_long_token_f32ILb0ELm128ELm9ELl32EEvPKfS1_S1_iiiiPfiiil.private_seg_size, 0
	.set _ZL23ssm_conv_long_token_f32ILb0ELm128ELm9ELl32EEvPKfS1_S1_iiiiPfiiil.uses_vcc, 1
	.set _ZL23ssm_conv_long_token_f32ILb0ELm128ELm9ELl32EEvPKfS1_S1_iiiiPfiiil.uses_flat_scratch, 0
	.set _ZL23ssm_conv_long_token_f32ILb0ELm128ELm9ELl32EEvPKfS1_S1_iiiiPfiiil.has_dyn_sized_stack, 0
	.set _ZL23ssm_conv_long_token_f32ILb0ELm128ELm9ELl32EEvPKfS1_S1_iiiiPfiiil.has_recursion, 0
	.set _ZL23ssm_conv_long_token_f32ILb0ELm128ELm9ELl32EEvPKfS1_S1_iiiiPfiiil.has_indirect_call, 0
	.section	.AMDGPU.csdata,"",@progbits
; Kernel info:
; codeLenInByte = 6676
; TotalNumSgprs: 22
; NumVgprs: 62
; ScratchSize: 0
; MemoryBound: 0
; FloatMode: 240
; IeeeMode: 1
; LDSByteSize: 0 bytes/workgroup (compile time only)
; SGPRBlocks: 0
; VGPRBlocks: 7
; NumSGPRsForWavesPerEU: 22
; NumVGPRsForWavesPerEU: 62
; Occupancy: 16
; WaveLimiterHint : 0
; COMPUTE_PGM_RSRC2:SCRATCH_EN: 0
; COMPUTE_PGM_RSRC2:USER_SGPR: 6
; COMPUTE_PGM_RSRC2:TRAP_HANDLER: 0
; COMPUTE_PGM_RSRC2:TGID_X_EN: 1
; COMPUTE_PGM_RSRC2:TGID_Y_EN: 1
; COMPUTE_PGM_RSRC2:TGID_Z_EN: 1
; COMPUTE_PGM_RSRC2:TIDIG_COMP_CNT: 0
	.section	.text._ZL12ssm_conv_f32ILb0ELm128ELm15EEvPKfS1_S1_iiiiPfiiil,"axG",@progbits,_ZL12ssm_conv_f32ILb0ELm128ELm15EEvPKfS1_S1_iiiiPfiiil,comdat
	.globl	_ZL12ssm_conv_f32ILb0ELm128ELm15EEvPKfS1_S1_iiiiPfiiil ; -- Begin function _ZL12ssm_conv_f32ILb0ELm128ELm15EEvPKfS1_S1_iiiiPfiiil
	.p2align	8
	.type	_ZL12ssm_conv_f32ILb0ELm128ELm15EEvPKfS1_S1_iiiiPfiiil,@function
_ZL12ssm_conv_f32ILb0ELm128ELm15EEvPKfS1_S1_iiiiPfiiil: ; @_ZL12ssm_conv_f32ILb0ELm128ELm15EEvPKfS1_S1_iiiiPfiiil
; %bb.0:
	s_clause 0x2
	s_load_dwordx4 s[12:15], s[4:5], 0x1c
	s_load_dwordx4 s[0:3], s[4:5], 0x0
	s_load_dwordx2 s[8:9], s[4:5], 0x10
	s_mov_b32 s10, s7
	s_ashr_i32 s11, s7, 31
	v_lshlrev_b32_e32 v15, 2, v0
	s_lshl_b64 s[16:17], s[10:11], 7
	s_lshr_b64 s[10:11], s[10:11], 25
	s_waitcnt lgkmcnt(0)
	s_ashr_i32 s7, s14, 31
	s_mul_hi_u32 s11, s16, s14
	s_mul_i32 s7, s16, s7
	s_mul_i32 s10, s10, s14
	s_add_i32 s7, s11, s7
	s_mul_i32 s11, s16, s14
	s_add_i32 s7, s7, s10
	s_add_u32 s18, s2, s11
	s_addc_u32 s19, s3, s7
	s_cmp_eq_u64 s[8:9], 0
	s_cbranch_scc1 .LBB18_2
; %bb.1:
	s_lshl_b64 s[2:3], s[16:17], 2
	s_add_u32 s2, s8, s2
	s_addc_u32 s3, s9, s3
	global_load_dword v35, v15, s[2:3]
	s_load_dwordx2 s[2:3], s[4:5], 0x40
	s_waitcnt lgkmcnt(0)
	v_cmp_lt_i64_e64 s7, s[2:3], 1
	s_and_b32 vcc_lo, exec_lo, s7
	s_cbranch_vccz .LBB18_3
	s_branch .LBB18_6
.LBB18_2:
	v_mov_b32_e32 v35, 0
	s_load_dwordx2 s[2:3], s[4:5], 0x40
	s_waitcnt lgkmcnt(0)
	v_cmp_lt_i64_e64 s7, s[2:3], 1
	s_and_b32 vcc_lo, exec_lo, s7
	s_cbranch_vccnz .LBB18_6
.LBB18_3:
	s_clause 0x1
	s_load_dwordx4 s[8:11], s[4:5], 0x30
	s_load_dwordx2 s[4:5], s[4:5], 0x28
	s_mul_i32 s7, s13, s6
	s_ashr_i32 s13, s12, 31
	s_ashr_i32 s20, s14, 2
	s_mul_hi_u32 s14, s16, s12
	s_mul_i32 s21, s16, s13
	s_mul_i32 s15, s17, s12
	s_add_i32 s14, s14, s21
	s_ashr_i32 s13, s7, 31
	s_add_i32 s14, s14, s15
	s_waitcnt lgkmcnt(0)
	s_mul_i32 s11, s16, s12
	v_mul_lo_u32 v3, s20, v0
	v_ashrrev_i32_e32 v4, 31, v3
	s_mul_i32 s6, s10, s6
	s_mul_hi_u32 s23, s16, s8
	s_ashr_i32 s10, s6, 31
	s_add_u32 s21, s4, s6
	s_addc_u32 s22, s5, s10
	s_ashr_i32 s15, s8, 31
	s_mul_i32 s17, s17, s8
	s_mul_i32 s15, s16, s15
	;; [unrolled: 1-line block ×3, first 2 shown]
	s_add_i32 s15, s23, s15
	s_add_i32 s15, s15, s17
	s_add_u32 s16, s21, s8
	s_addc_u32 s17, s22, s15
	s_add_u32 s21, s0, s7
	s_addc_u32 s22, s1, s13
	;; [unrolled: 2-line block ×3, first 2 shown]
	s_ashr_i32 s12, s12, 2
	s_cmp_eq_u64 s[2:3], 1
	v_mul_lo_u32 v1, s12, v0
	v_ashrrev_i32_e32 v2, 31, v1
	v_lshlrev_b64 v[31:32], 2, v[1:2]
	v_lshlrev_b64 v[0:1], 2, v[3:4]
	v_add_co_u32 v12, vcc_lo, s21, v31
	v_add_co_ci_u32_e64 v13, null, s22, v32, vcc_lo
	v_add_co_u32 v28, vcc_lo, s18, v0
	v_add_co_ci_u32_e64 v29, null, s19, v1, vcc_lo
	global_load_dwordx4 v[0:3], v[12:13], off
	s_clause 0x1
	global_load_dwordx4 v[16:19], v[28:29], off
	global_load_dwordx4 v[20:23], v[28:29], off offset:16
	s_clause 0x1
	global_load_dwordx4 v[4:7], v[12:13], off offset:16
	global_load_dwordx4 v[8:11], v[12:13], off offset:32
	s_clause 0x1
	global_load_dwordx4 v[24:27], v[28:29], off offset:32
	global_load_dwordx3 v[28:30], v[28:29], off offset:48
	global_load_dwordx3 v[12:14], v[12:13], off offset:48
	s_waitcnt vmcnt(6)
	v_fma_f32 v33, v16, v0, 0
	v_fmac_f32_e32 v33, v17, v1
	v_fmac_f32_e32 v33, v18, v2
	v_fmac_f32_e32 v33, v19, v3
	s_waitcnt vmcnt(4)
	v_fmac_f32_e32 v33, v20, v4
	v_fmac_f32_e32 v33, v21, v5
	v_fmac_f32_e32 v33, v22, v6
	v_fmac_f32_e32 v33, v23, v7
	s_waitcnt vmcnt(2)
	v_fmac_f32_e32 v33, v24, v8
	;; [unrolled: 5-line block ×3, first 2 shown]
	v_fmac_f32_e32 v33, v29, v13
	v_fmac_f32_e32 v33, v30, v14
	v_add_f32_e32 v33, v35, v33
	global_store_dword v15, v33, s[16:17]
	s_cbranch_scc1 .LBB18_6
; %bb.4:
	s_ashr_i32 s16, s9, 2
                                        ; implicit-def: $vgpr46 : SGPR spill to VGPR lane
	s_mov_b64 s[18:19], 10
	s_ashr_i32 s17, s16, 31
	s_add_u32 s2, s2, -1
	s_addc_u32 s3, s3, -1
	v_writelane_b32 v46, s2, 0
	s_add_u32 s0, s0, s7
	s_addc_u32 s1, s1, s13
	s_add_u32 s0, s0, s11
	s_addc_u32 s1, s1, s14
	v_writelane_b32 v46, s3, 1
	v_add_co_u32 v31, vcc_lo, s0, v31
	v_add_co_ci_u32_e64 v32, null, s1, v32, vcc_lo
	s_lshl_b64 s[0:1], s[16:17], 2
	v_add_co_u32 v31, vcc_lo, v31, 60
	s_add_u32 s7, s8, s0
	v_writelane_b32 v46, s0, 2
	s_addc_u32 s8, s15, s1
	s_add_u32 s4, s4, s6
	s_addc_u32 s5, s5, s10
	s_add_u32 s4, s4, s7
	s_addc_u32 s5, s5, s8
	v_add_co_u32 v33, s4, s4, v15
	v_add_co_ci_u32_e64 v32, null, 0, v32, vcc_lo
	v_add_co_ci_u32_e64 v34, null, s5, 0, s4
	s_mov_b64 s[4:5], 1
	s_mov_b64 s[6:7], 0
	;; [unrolled: 1-line block ×15, first 2 shown]
	v_writelane_b32 v46, s1, 3
.LBB18_5:                               ; =>This Inner Loop Header: Depth=1
	global_load_dword v15, v[31:32], off
	s_mul_i32 s40, s5, 0x88888889
	s_mul_hi_u32 s41, s4, 0x88888889
	s_mul_hi_u32 s39, s5, 0x88888889
	s_mul_i32 s38, s4, 0x88888888
	s_add_u32 s40, s40, s41
	s_mul_hi_u32 s33, s4, 0x88888888
	s_addc_u32 s1, s39, 0
	s_add_u32 s38, s38, s40
	s_addc_u32 s33, s33, 0
	s_mul_i32 s43, s5, 0x88888888
	s_add_u32 s1, s1, s33
	s_mul_hi_u32 s42, s5, 0x88888888
	s_addc_u32 s33, 0, 0
	s_add_u32 s38, s43, s1
	s_addc_u32 s39, s42, s33
	s_mul_i32 s47, s9, 0x88888889
	s_mul_hi_u32 s48, s8, 0x88888889
	s_mul_hi_u32 s46, s9, 0x88888889
	s_lshr_b64 s[38:39], s[38:39], 3
	s_mul_i32 s45, s8, 0x88888888
	s_add_u32 s1, s47, s48
	s_mul_hi_u32 s44, s8, 0x88888888
	s_addc_u32 s40, s46, 0
	s_add_u32 s1, s45, s1
	s_addc_u32 s1, s44, 0
	s_mul_i32 s50, s9, 0x88888888
	s_add_u32 s1, s40, s1
	s_mul_hi_u32 s49, s9, 0x88888888
	s_addc_u32 s41, 0, 0
	s_add_u32 s40, s50, s1
	s_addc_u32 s41, s49, s41
	s_mul_i32 s54, s11, 0x88888889
	s_mul_hi_u32 s55, s10, 0x88888889
	s_mul_hi_u32 s53, s11, 0x88888889
	s_lshr_b64 s[40:41], s[40:41], 3
	;; [unrolled: 16-line block ×8, first 2 shown]
	s_mul_i32 vcc_hi, s22, 0x88888888
	s_add_u32 s0, s3, s0
	s_mul_hi_u32 vcc_lo, s22, 0x88888888
	s_addc_u32 s2, s2, 0
	s_add_u32 s0, vcc_hi, s0
	s_addc_u32 s0, vcc_lo, 0
	s_mul_i32 s56, s23, 0x88888888
	s_add_u32 s0, s2, s0
	s_mul_hi_u32 s57, s23, 0x88888888
	s_addc_u32 s2, 0, 0
	s_add_u32 s54, s56, s0
	s_addc_u32 s55, s57, s2
	s_mul_i32 s58, s25, 0x88888889
	s_mul_hi_u32 s59, s24, 0x88888889
	s_mul_hi_u32 s39, s25, 0x88888889
	s_lshr_b64 s[54:55], s[54:55], 3
	s_mul_i32 s33, s24, 0x88888888
	s_mul_i32 s2, s38, 15
	s_add_u32 s38, s58, s59
	s_addc_u32 s39, s39, 0
	s_add_u32 s33, s33, s38
	s_mul_hi_u32 s33, s24, 0x88888888
	s_mul_i32 s60, s25, 0x88888888
	s_addc_u32 s33, s33, 0
	s_mul_hi_u32 s1, s25, 0x88888888
	s_add_u32 s33, s39, s33
	s_addc_u32 s39, 0, 0
	s_add_u32 s38, s60, s33
	s_addc_u32 s39, s1, s39
	s_mul_i32 s64, s27, 0x88888889
	s_mul_hi_u32 s66, s26, 0x88888889
	s_mul_hi_u32 s62, s27, 0x88888889
	s_lshr_b64 s[38:39], s[38:39], 3
	s_mul_i32 s61, s26, 0x88888888
	s_add_u32 s1, s64, s66
	s_mul_hi_u32 s41, s26, 0x88888888
	s_mul_i32 s33, s38, 15
	s_addc_u32 s38, s62, 0
	s_add_u32 s1, s61, s1
	s_addc_u32 s1, s41, 0
	s_mul_i32 s65, s27, 0x88888888
	s_add_u32 s1, s38, s1
	s_mul_hi_u32 s63, s27, 0x88888888
	s_addc_u32 s39, 0, 0
	s_add_u32 s38, s65, s1
	s_addc_u32 s39, s63, s39
	s_mul_i32 s70, s29, 0x88888889
	s_mul_hi_u32 s71, s28, 0x88888889
	s_mul_hi_u32 s68, s29, 0x88888889
	s_lshr_b64 s[38:39], s[38:39], 3
	s_mul_i32 s67, s28, 0x88888888
	s_add_u32 s1, s70, s71
	s_mul_hi_u32 s43, s28, 0x88888888
	s_mul_i32 s41, s38, 15
	s_addc_u32 s38, s68, 0
	s_add_u32 s1, s67, s1
	s_addc_u32 s1, s43, 0
	s_mul_i32 s72, s29, 0x88888888
	s_add_u32 s1, s38, s1
	s_mul_hi_u32 s45, s29, 0x88888888
	;; [unrolled: 17-line block ×6, first 2 shown]
	s_addc_u32 s3, 0, 0
	s_add_u32 s38, s91, s0
	s_addc_u32 s39, s90, s3
	s_sub_i32 s0, s6, s2
	s_lshr_b64 s[38:39], s[38:39], 3
	s_mul_i32 s54, s54, 15
	s_mul_i32 s2, s38, -15
	s_mul_i32 s52, s52, 15
	s_add_i32 m0, s6, s2
	s_mul_i32 s50, s50, 15
	s_mul_i32 s48, s48, 15
	;; [unrolled: 1-line block ×6, first 2 shown]
	v_add_co_u32 v31, vcc_lo, v31, 4
	v_add_co_ci_u32_e64 v32, null, 0, v32, vcc_lo
	s_waitcnt vmcnt(0)
	v_movreld_b32_e32 v0, v15
	s_add_i32 m0, s0, 1
	s_add_u32 s4, s4, 1
	v_movrels_b32_e32 v36, v0
	s_addc_u32 s5, s5, 0
	s_sub_i32 s0, s6, s1
	s_sub_i32 s1, s6, s47
	s_add_i32 m0, s0, 2
	v_fma_f32 v36, v16, v36, 0
	v_movrels_b32_e32 v37, v0
	s_add_i32 m0, s1, 3
	s_sub_i32 s2, s6, s45
	v_movrels_b32_e32 v38, v0
	s_add_i32 m0, s2, 4
	v_fmac_f32_e32 v36, v17, v37
	v_movrels_b32_e32 v39, v0
	s_sub_i32 s3, s6, s43
	s_sub_i32 s38, s6, s41
	s_add_i32 m0, s3, 5
	v_fmac_f32_e32 v36, v18, v38
	v_movrels_b32_e32 v40, v0
	s_add_i32 m0, s38, 6
	s_sub_i32 s33, s6, s33
	v_movrels_b32_e32 v41, v0
	v_fmac_f32_e32 v36, v19, v39
	s_add_i32 m0, s33, 7
	s_sub_i32 s39, s6, s54
	v_movrels_b32_e32 v37, v0
	s_add_i32 m0, s39, 8
	v_fmac_f32_e32 v36, v20, v40
	v_movrels_b32_e32 v42, v0
	s_sub_i32 s41, s6, s52
	s_sub_i32 s43, s6, s50
	s_add_i32 m0, s41, 9
	v_fmac_f32_e32 v36, v21, v41
	v_movrels_b32_e32 v38, v0
	s_add_i32 m0, s43, 10
	s_sub_i32 s45, s6, s48
	v_movrels_b32_e32 v43, v0
	v_fmac_f32_e32 v36, v22, v37
	s_add_i32 m0, s45, 11
	s_sub_i32 s46, s6, s46
	v_movrels_b32_e32 v44, v0
	s_add_i32 m0, s46, 12
	v_fmac_f32_e32 v36, v23, v42
	v_movrels_b32_e32 v39, v0
	s_sub_i32 s44, s6, s44
	s_sub_i32 s42, s6, s42
	s_add_i32 m0, s44, 13
	v_fmac_f32_e32 v36, v24, v38
	s_sub_i32 s40, s6, s40
	v_movrels_b32_e32 v45, v0
	s_add_i32 m0, s42, 14
	v_readlane_b32 s0, v46, 2
	v_fmac_f32_e32 v36, v25, v43
	v_movrels_b32_e32 v40, v0
	s_add_i32 m0, s40, 15
	s_add_u32 s6, s6, 1
	s_addc_u32 s7, s7, 0
	v_fmac_f32_e32 v36, v26, v44
	s_add_u32 s8, s8, 1
	s_addc_u32 s9, s9, 0
	s_add_u32 s10, s10, 1
	s_addc_u32 s11, s11, 0
	v_fmac_f32_e32 v36, v27, v39
	s_add_u32 s12, s12, 1
	v_movrels_b32_e32 v15, v0
	s_addc_u32 s13, s13, 0
	s_add_u32 s14, s14, 1
	v_fmac_f32_e32 v36, v28, v45
	s_addc_u32 s15, s15, 0
	s_add_u32 s16, s16, 1
	s_addc_u32 s17, s17, 0
	s_add_u32 s18, s18, 1
	v_fmac_f32_e32 v36, v29, v40
	s_addc_u32 s19, s19, 0
	s_add_u32 s20, s20, 1
	;; [unrolled: 5-line block ×3, first 2 shown]
	s_addc_u32 s25, s25, 0
	v_readlane_b32 s1, v46, 3
	v_add_f32_e32 v15, v35, v36
	s_add_u32 s26, s26, 1
	s_addc_u32 s27, s27, 0
	s_add_u32 s28, s28, 1
	s_addc_u32 s29, s29, 0
	global_store_dword v[33:34], v15, off
	v_add_co_u32 v33, vcc_lo, v33, s0
	s_add_u32 s30, s30, 1
	v_add_co_ci_u32_e64 v34, null, s1, v34, vcc_lo
	v_readlane_b32 s0, v46, 0
	s_addc_u32 s31, s31, 0
	v_readlane_b32 s1, v46, 1
	s_add_u32 s34, s34, 1
	s_addc_u32 s35, s35, 0
	s_add_u32 s36, s36, 1
	s_addc_u32 s37, s37, 0
	s_cmp_eq_u64 s[0:1], s[6:7]
	s_cbranch_scc0 .LBB18_5
.LBB18_6:
	s_endpgm
	.section	.rodata,"a",@progbits
	.p2align	6, 0x0
	.amdhsa_kernel _ZL12ssm_conv_f32ILb0ELm128ELm15EEvPKfS1_S1_iiiiPfiiil
		.amdhsa_group_segment_fixed_size 0
		.amdhsa_private_segment_fixed_size 0
		.amdhsa_kernarg_size 72
		.amdhsa_user_sgpr_count 6
		.amdhsa_user_sgpr_private_segment_buffer 1
		.amdhsa_user_sgpr_dispatch_ptr 0
		.amdhsa_user_sgpr_queue_ptr 0
		.amdhsa_user_sgpr_kernarg_segment_ptr 1
		.amdhsa_user_sgpr_dispatch_id 0
		.amdhsa_user_sgpr_flat_scratch_init 0
		.amdhsa_user_sgpr_private_segment_size 0
		.amdhsa_wavefront_size32 1
		.amdhsa_uses_dynamic_stack 0
		.amdhsa_system_sgpr_private_segment_wavefront_offset 0
		.amdhsa_system_sgpr_workgroup_id_x 1
		.amdhsa_system_sgpr_workgroup_id_y 1
		.amdhsa_system_sgpr_workgroup_id_z 0
		.amdhsa_system_sgpr_workgroup_info 0
		.amdhsa_system_vgpr_workitem_id 0
		.amdhsa_next_free_vgpr 47
		.amdhsa_next_free_sgpr 105
		.amdhsa_reserve_vcc 1
		.amdhsa_reserve_flat_scratch 0
		.amdhsa_float_round_mode_32 0
		.amdhsa_float_round_mode_16_64 0
		.amdhsa_float_denorm_mode_32 3
		.amdhsa_float_denorm_mode_16_64 3
		.amdhsa_dx10_clamp 1
		.amdhsa_ieee_mode 1
		.amdhsa_fp16_overflow 0
		.amdhsa_workgroup_processor_mode 1
		.amdhsa_memory_ordered 1
		.amdhsa_forward_progress 1
		.amdhsa_shared_vgpr_count 0
		.amdhsa_exception_fp_ieee_invalid_op 0
		.amdhsa_exception_fp_denorm_src 0
		.amdhsa_exception_fp_ieee_div_zero 0
		.amdhsa_exception_fp_ieee_overflow 0
		.amdhsa_exception_fp_ieee_underflow 0
		.amdhsa_exception_fp_ieee_inexact 0
		.amdhsa_exception_int_div_zero 0
	.end_amdhsa_kernel
	.section	.text._ZL12ssm_conv_f32ILb0ELm128ELm15EEvPKfS1_S1_iiiiPfiiil,"axG",@progbits,_ZL12ssm_conv_f32ILb0ELm128ELm15EEvPKfS1_S1_iiiiPfiiil,comdat
.Lfunc_end18:
	.size	_ZL12ssm_conv_f32ILb0ELm128ELm15EEvPKfS1_S1_iiiiPfiiil, .Lfunc_end18-_ZL12ssm_conv_f32ILb0ELm128ELm15EEvPKfS1_S1_iiiiPfiiil
                                        ; -- End function
	.set _ZL12ssm_conv_f32ILb0ELm128ELm15EEvPKfS1_S1_iiiiPfiiil.num_vgpr, 47
	.set _ZL12ssm_conv_f32ILb0ELm128ELm15EEvPKfS1_S1_iiiiPfiiil.num_agpr, 0
	.set _ZL12ssm_conv_f32ILb0ELm128ELm15EEvPKfS1_S1_iiiiPfiiil.numbered_sgpr, 105
	.set _ZL12ssm_conv_f32ILb0ELm128ELm15EEvPKfS1_S1_iiiiPfiiil.num_named_barrier, 0
	.set _ZL12ssm_conv_f32ILb0ELm128ELm15EEvPKfS1_S1_iiiiPfiiil.private_seg_size, 0
	.set _ZL12ssm_conv_f32ILb0ELm128ELm15EEvPKfS1_S1_iiiiPfiiil.uses_vcc, 1
	.set _ZL12ssm_conv_f32ILb0ELm128ELm15EEvPKfS1_S1_iiiiPfiiil.uses_flat_scratch, 0
	.set _ZL12ssm_conv_f32ILb0ELm128ELm15EEvPKfS1_S1_iiiiPfiiil.has_dyn_sized_stack, 0
	.set _ZL12ssm_conv_f32ILb0ELm128ELm15EEvPKfS1_S1_iiiiPfiiil.has_recursion, 0
	.set _ZL12ssm_conv_f32ILb0ELm128ELm15EEvPKfS1_S1_iiiiPfiiil.has_indirect_call, 0
	.section	.AMDGPU.csdata,"",@progbits
; Kernel info:
; codeLenInByte = 2784
; TotalNumSgprs: 107
; NumVgprs: 47
; ScratchSize: 0
; MemoryBound: 0
; FloatMode: 240
; IeeeMode: 1
; LDSByteSize: 0 bytes/workgroup (compile time only)
; SGPRBlocks: 0
; VGPRBlocks: 5
; NumSGPRsForWavesPerEU: 107
; NumVGPRsForWavesPerEU: 47
; Occupancy: 16
; WaveLimiterHint : 0
; COMPUTE_PGM_RSRC2:SCRATCH_EN: 0
; COMPUTE_PGM_RSRC2:USER_SGPR: 6
; COMPUTE_PGM_RSRC2:TRAP_HANDLER: 0
; COMPUTE_PGM_RSRC2:TGID_X_EN: 1
; COMPUTE_PGM_RSRC2:TGID_Y_EN: 1
; COMPUTE_PGM_RSRC2:TGID_Z_EN: 0
; COMPUTE_PGM_RSRC2:TIDIG_COMP_CNT: 0
	.section	.text._ZL23ssm_conv_long_token_f32ILb0ELm128ELm15ELl32EEvPKfS1_S1_iiiiPfiiil,"axG",@progbits,_ZL23ssm_conv_long_token_f32ILb0ELm128ELm15ELl32EEvPKfS1_S1_iiiiPfiiil,comdat
	.globl	_ZL23ssm_conv_long_token_f32ILb0ELm128ELm15ELl32EEvPKfS1_S1_iiiiPfiiil ; -- Begin function _ZL23ssm_conv_long_token_f32ILb0ELm128ELm15ELl32EEvPKfS1_S1_iiiiPfiiil
	.p2align	8
	.type	_ZL23ssm_conv_long_token_f32ILb0ELm128ELm15ELl32EEvPKfS1_S1_iiiiPfiiil,@function
_ZL23ssm_conv_long_token_f32ILb0ELm128ELm15ELl32EEvPKfS1_S1_iiiiPfiiil: ; @_ZL23ssm_conv_long_token_f32ILb0ELm128ELm15ELl32EEvPKfS1_S1_iiiiPfiiil
; %bb.0:
	v_mul_u32_u24_e32 v1, 0x591, v0
	s_clause 0x1
	s_load_dwordx4 s[0:3], s[4:5], 0x18
	s_load_dwordx2 s[12:13], s[4:5], 0x0
	s_mov_b32 s10, s7
	v_lshrrev_b32_e32 v5, 16, v1
	v_mul_lo_u16 v1, v5, 46
	v_sub_nc_u16 v1, v0, v1
	v_or_b32_e32 v2, 0xffffff80, v1
	s_waitcnt lgkmcnt(0)
	s_mul_i32 s2, s2, s6
	v_and_b32_e32 v1, 0xffff, v1
	s_ashr_i32 s7, s2, 31
	s_add_u32 s2, s12, s2
	v_lshrrev_b16 v3, 1, v2
	s_addc_u32 s7, s13, s7
	s_ashr_i32 s11, s10, 31
	s_ashr_i32 s9, s1, 31
	s_lshl_b64 s[12:13], s[10:11], 7
	v_and_b32_e32 v3, 0x7f, v3
	s_lshr_b64 s[10:11], s[10:11], 25
	s_mul_i32 s9, s12, s9
	s_mul_hi_u32 s11, s12, s1
	s_mul_i32 s10, s10, s1
	v_mul_lo_u16 v3, 0xb3, v3
	s_add_i32 s9, s11, s9
	s_mul_i32 s14, s12, s1
	s_add_i32 s9, s9, s10
	s_add_u32 s2, s2, s14
	v_lshrrev_b16 v6, 12, v3
	s_addc_u32 s7, s7, s9
	s_ashr_i32 s9, s8, 31
	s_ashr_i32 s10, s0, 31
	s_lshl_b64 s[14:15], s[8:9], 5
	v_mul_lo_u16 v3, v6, 46
	s_lshr_b64 s[8:9], s[8:9], 27
	s_mul_i32 s9, s14, s10
	s_mul_hi_u32 s10, s14, s0
	s_mul_i32 s8, s8, s0
	v_sub_nc_u16 v2, v2, v3
	s_add_i32 s9, s10, s9
	s_mul_i32 s0, s14, s0
	s_add_i32 s9, s9, s8
	s_add_u32 s0, s2, s0
	v_or_b32_e32 v3, 0xffffff80, v2
	s_addc_u32 s2, s7, s9
	s_ashr_i32 s1, s1, 2
	v_add_nc_u32_sdwa v15, v5, v6 dst_sel:DWORD dst_unused:UNUSED_PAD src0_sel:DWORD src1_sel:WORD_0
	s_mov_b32 s7, exec_lo
	v_lshrrev_b16 v4, 1, v3
	v_and_b32_e32 v4, 0x7f, v4
	v_mul_lo_u16 v4, 0xb3, v4
	v_lshrrev_b16 v10, 12, v4
	v_mul_lo_u16 v4, v10, 46
	v_sub_nc_u16 v11, v3, v4
	v_or_b32_e32 v3, 0xffffff80, v11
	v_lshrrev_b16 v4, 1, v3
	v_and_b32_e32 v4, 0x7f, v4
	v_mul_lo_u16 v4, 0xb3, v4
	v_lshrrev_b16 v12, 12, v4
	v_mul_lo_u16 v4, v12, 46
	v_sub_nc_u16 v13, v3, v4
	v_or_b32_e32 v3, 0xffffff80, v13
	;; [unrolled: 7-line block ×3, first 2 shown]
	v_and_b32_e32 v22, 0xff, v17
	v_lshrrev_b16 v4, 1, v3
	v_and_b32_e32 v4, 0x7f, v4
	v_mul_lo_u16 v4, 0xb3, v4
	v_lshrrev_b16 v19, 12, v4
	v_mul_lo_u16 v4, v19, 46
	v_sub_nc_u16 v21, v3, v4
	v_or_b32_e32 v3, 0xffffff80, v21
	v_lshrrev_b16 v4, 1, v3
	v_and_b32_e32 v4, 0x7f, v4
	v_mul_lo_u16 v4, 0xb3, v4
	v_lshrrev_b16 v26, 12, v4
	v_mul_lo_u16 v4, v26, 46
	v_sub_nc_u16 v27, v3, v4
	v_or_b32_e32 v3, 0xffffff80, v27
	;; [unrolled: 7-line block ×4, first 2 shown]
	v_lshrrev_b16 v4, 1, v3
	v_and_b32_e32 v4, 0x7f, v4
	v_mul_lo_u16 v4, 0xb3, v4
	v_lshrrev_b16 v32, 12, v4
	v_mul_lo_u16 v4, v32, 46
	v_sub_nc_u16 v33, v3, v4
	v_mad_u64_u32 v[3:4], null, s1, v5, v[1:2]
	v_and_b32_e32 v2, 0xff, v2
	v_lshlrev_b32_e32 v1, 2, v1
	v_or_b32_e32 v16, 0xffffff80, v33
	v_ashrrev_i32_e32 v4, 31, v3
	v_lshrrev_b16 v7, 1, v16
	v_lshlrev_b64 v[3:4], 2, v[3:4]
	v_and_b32_e32 v8, 0x7f, v7
	v_mad_u64_u32 v[6:7], null, v15, s1, v[2:3]
	v_mul_lo_u16 v18, 0xb3, v8
	v_add_co_u32 v8, vcc_lo, s0, v3
	v_add_co_ci_u32_e64 v9, null, s2, v4, vcc_lo
	v_lshrrev_b16 v34, 12, v18
	v_ashrrev_i32_e32 v7, 31, v6
	v_and_b32_e32 v4, 0xff, v11
	v_add_nc_u32_sdwa v18, v15, v10 dst_sel:DWORD dst_unused:UNUSED_PAD src0_sel:DWORD src1_sel:WORD_0
	global_load_dword v8, v[8:9], off
	v_mul_lo_u16 v11, v34, 46
	v_lshlrev_b64 v[6:7], 2, v[6:7]
	v_and_b32_e32 v3, 0xff, v13
	v_add_nc_u32_sdwa v20, v18, v12 dst_sel:DWORD dst_unused:UNUSED_PAD src0_sel:DWORD src1_sel:WORD_0
	v_mul_u32_u24_e32 v15, 0xb8, v15
	v_sub_nc_u16 v35, v16, v11
	v_lshlrev_b32_e32 v2, 2, v2
	v_add_co_u32 v6, vcc_lo, s0, v6
	v_add_co_ci_u32_e64 v7, null, s2, v7, vcc_lo
	v_or_b32_e32 v36, 0xffffff80, v35
	v_add_nc_u32_sdwa v37, v20, v14 dst_sel:DWORD dst_unused:UNUSED_PAD src0_sel:DWORD src1_sel:WORD_0
	v_mad_u64_u32 v[11:12], null, v20, s1, v[3:4]
	global_load_dword v16, v[6:7], off
	v_mad_u64_u32 v[9:10], null, v18, s1, v[4:5]
	v_lshrrev_b16 v13, 1, v36
	v_add_nc_u32_sdwa v38, v37, v19 dst_sel:DWORD dst_unused:UNUSED_PAD src0_sel:DWORD src1_sel:WORD_0
	v_mul_u32_u24_e32 v18, 0xb8, v18
	v_ashrrev_i32_e32 v12, 31, v11
	v_lshlrev_b32_e32 v4, 2, v4
	v_add3_u32 v50, 0, v15, v2
	v_ashrrev_i32_e32 v10, 31, v9
	v_mul_u32_u24_e32 v5, 0xb8, v5
	v_lshlrev_b64 v[11:12], 2, v[11:12]
	v_add3_u32 v51, 0, v18, v4
	v_lshlrev_b32_e32 v3, 2, v3
	v_lshlrev_b64 v[6:7], 2, v[9:10]
	v_mad_u64_u32 v[9:10], null, v37, s1, v[22:23]
	v_and_b32_e32 v10, 0x7f, v13
	v_and_b32_e32 v23, 0xff, v21
	v_add3_u32 v5, 0, v5, v1
	v_add_co_u32 v6, vcc_lo, s0, v6
	v_mul_lo_u16 v13, 0xb3, v10
	v_mad_u64_u32 v[24:25], null, v38, s1, v[23:24]
	v_add_co_ci_u32_e64 v7, null, s2, v7, vcc_lo
	v_lshrrev_b16 v19, 12, v13
	v_ashrrev_i32_e32 v10, 31, v9
	v_mul_u32_u24_e32 v1, 0xb8, v20
	global_load_dword v13, v[6:7], off
	v_ashrrev_i32_e32 v25, 31, v24
	v_mul_lo_u16 v14, v19, 46
	v_lshlrev_b64 v[6:7], 2, v[9:10]
	v_add_co_u32 v9, vcc_lo, s0, v11
	v_add_co_ci_u32_e64 v10, null, s2, v12, vcc_lo
	v_sub_nc_u16 v21, v36, v14
	v_add_co_u32 v6, vcc_lo, s0, v6
	v_lshlrev_b64 v[11:12], 2, v[24:25]
	v_add_nc_u32_sdwa v36, v38, v26 dst_sel:DWORD dst_unused:UNUSED_PAD src0_sel:DWORD src1_sel:WORD_0
	v_and_b32_e32 v24, 0xff, v27
	v_add_co_ci_u32_e64 v7, null, s2, v7, vcc_lo
	v_or_b32_e32 v14, 0xffffff80, v21
	s_clause 0x1
	global_load_dword v17, v[9:10], off
	global_load_dword v10, v[6:7], off
	v_mad_u64_u32 v[6:7], null, v36, s1, v[24:25]
	v_lshrrev_b16 v7, 1, v14
	v_add_nc_u32_sdwa v39, v36, v28 dst_sel:DWORD dst_unused:UNUSED_PAD src0_sel:DWORD src1_sel:WORD_0
	v_and_b32_e32 v25, 0xff, v29
	v_and_b32_e32 v28, 0xff, v31
	v_add_co_u32 v11, vcc_lo, s0, v11
	v_and_b32_e32 v9, 0x7f, v7
	v_ashrrev_i32_e32 v7, 31, v6
	v_mad_u64_u32 v[26:27], null, v39, s1, v[25:26]
	v_add_nc_u32_sdwa v41, v39, v30 dst_sel:DWORD dst_unused:UNUSED_PAD src0_sel:DWORD src1_sel:WORD_0
	v_mul_lo_u16 v9, 0xb3, v9
	v_lshlrev_b64 v[6:7], 2, v[6:7]
	v_add_co_ci_u32_e64 v12, null, s2, v12, vcc_lo
	v_mad_u64_u32 v[29:30], null, v41, s1, v[28:29]
	v_lshrrev_b16 v40, 12, v9
	v_add_co_u32 v6, vcc_lo, s0, v6
	v_add_co_ci_u32_e64 v7, null, s2, v7, vcc_lo
	v_mul_lo_u16 v9, v40, 46
	v_ashrrev_i32_e32 v27, 31, v26
	s_clause 0x1
	global_load_dword v11, v[11:12], off
	global_load_dword v12, v[6:7], off
	v_ashrrev_i32_e32 v30, 31, v29
	v_sub_nc_u16 v42, v14, v9
	v_lshlrev_b64 v[6:7], 2, v[26:27]
	v_add_nc_u32_sdwa v43, v41, v32 dst_sel:DWORD dst_unused:UNUSED_PAD src0_sel:DWORD src1_sel:WORD_0
	v_and_b32_e32 v26, 0xff, v33
	v_lshlrev_b64 v[29:30], 2, v[29:30]
	v_or_b32_e32 v14, 0xffffff80, v42
	v_mul_lo_u32 v18, 0xb8, v36
	v_add_co_u32 v6, vcc_lo, s0, v6
	v_add_co_ci_u32_e64 v7, null, s2, v7, vcc_lo
	v_lshrrev_b16 v9, 1, v14
	v_add_nc_u32_sdwa v34, v43, v34 dst_sel:DWORD dst_unused:UNUSED_PAD src0_sel:DWORD src1_sel:WORD_0
	v_lshlrev_b32_e32 v20, 2, v23
	v_mul_u32_u24_e32 v4, 0xb8, v37
	v_add3_u32 v37, 0, v1, v3
	v_and_b32_e32 v27, 0x7f, v9
	global_load_dword v9, v[6:7], off
	v_add_co_u32 v6, vcc_lo, s0, v29
	v_add_co_ci_u32_e64 v7, null, s2, v30, vcc_lo
	v_mad_u64_u32 v[31:32], null, v43, s1, v[26:27]
	v_mul_lo_u16 v27, 0xb3, v27
	global_load_dword v7, v[6:7], off
	v_lshlrev_b32_e32 v15, 2, v22
	v_lshlrev_b32_e32 v22, 2, v24
	v_mul_lo_u32 v24, 0xb8, v43
	v_lshrrev_b16 v33, 12, v27
	v_ashrrev_i32_e32 v32, 31, v31
	v_and_b32_e32 v27, 0xff, v35
	v_add3_u32 v52, 0, v18, v22
	v_lshlrev_b32_e32 v22, 2, v28
	v_mul_lo_u16 v6, v33, 46
	v_lshlrev_b64 v[29:30], 2, v[31:32]
	v_mad_u64_u32 v[31:32], null, v34, s1, v[27:28]
	v_lshlrev_b32_e32 v18, 2, v25
	v_sub_nc_u16 v35, v14, v6
	v_lshlrev_b32_e32 v25, 2, v26
	v_add_co_u32 v29, vcc_lo, s0, v29
	v_add_co_ci_u32_e64 v30, null, s2, v30, vcc_lo
	v_or_b32_e32 v44, 0xffffff80, v35
	v_ashrrev_i32_e32 v32, 31, v31
	v_lshlrev_b32_e32 v26, 2, v27
	global_load_dword v14, v[29:30], off
	v_add3_u32 v43, 0, v24, v25
	v_lshrrev_b16 v6, 1, v44
	v_lshlrev_b64 v[29:30], 2, v[31:32]
	v_and_b32_e32 v6, 0x7f, v6
	v_add_co_u32 v29, vcc_lo, s0, v29
	v_add_co_ci_u32_e64 v30, null, s2, v30, vcc_lo
	v_mul_lo_u16 v6, 0xb3, v6
	v_lshrrev_b16 v31, 12, v6
	global_load_dword v6, v[29:30], off
	v_mul_lo_u16 v29, v31, 46
	v_sub_nc_u16 v29, v44, v29
	v_or_b32_e32 v30, 0xffffff80, v29
	v_lshrrev_b16 v32, 1, v30
	v_and_b32_e32 v32, 0x7f, v32
	v_mul_lo_u16 v32, 0xb3, v32
	v_lshrrev_b16 v32, 12, v32
	v_mul_lo_u16 v44, v32, 46
	v_sub_nc_u16 v30, v30, v44
	v_or_b32_e32 v44, 0xffffff80, v30
	v_lshrrev_b16 v45, 1, v44
	v_and_b32_e32 v45, 0x7f, v45
	v_mul_lo_u16 v45, 0xb3, v45
	v_lshrrev_b16 v45, 12, v45
	v_mul_lo_u16 v46, v45, 46
	v_sub_nc_u16 v44, v44, v46
	v_or_b32_e32 v46, 0xffffff80, v44
	v_lshrrev_b16 v47, 1, v46
	v_and_b32_e32 v47, 0x7f, v47
	v_mul_lo_u16 v47, 0xb3, v47
	v_lshrrev_b16 v47, 12, v47
	v_mul_lo_u16 v48, v47, 46
	v_sub_nc_u16 v46, v46, v48
	v_or_b32_e32 v48, 0xffffff80, v46
	v_lshrrev_b16 v49, 1, v48
	v_and_b32_e32 v49, 0x7f, v49
	v_mul_lo_u16 v49, 0xb3, v49
	v_lshrrev_b16 v49, 12, v49
	v_mul_lo_u16 v2, v49, 46
	v_sub_nc_u16 v36, v48, v2
	v_mul_u32_u24_e32 v2, 0xb8, v38
	v_add3_u32 v38, 0, v4, v15
	v_add_nc_u32_sdwa v15, v34, v19 dst_sel:DWORD dst_unused:UNUSED_PAD src0_sel:DWORD src1_sel:WORD_0
	v_mul_lo_u32 v19, 0xb8, v34
	v_or_b32_e32 v23, 0xffffff80, v36
	v_add3_u32 v48, 0, v2, v20
	v_mul_lo_u32 v2, 0xb8, v39
	v_mul_lo_u32 v20, 0xb8, v41
	v_lshrrev_b16 v1, 1, v23
	s_waitcnt vmcnt(10)
	ds_write_b32 v5, v8
	v_add_nc_u32_sdwa v8, v15, v40 dst_sel:DWORD dst_unused:UNUSED_PAD src0_sel:DWORD src1_sel:WORD_0
	v_add3_u32 v53, 0, v19, v26
	v_and_b32_e32 v3, 0x7f, v1
	v_and_b32_e32 v1, 0xff, v21
	v_add3_u32 v41, 0, v20, v22
	v_add3_u32 v34, 0, v2, v18
	v_mul_lo_u16 v21, 0xb3, v3
	v_mad_u64_u32 v[3:4], null, v15, s1, v[1:2]
	v_and_b32_e32 v2, 0xff, v42
	v_lshlrev_b32_e32 v1, 2, v1
	v_lshrrev_b16 v39, 12, v21
	s_waitcnt vmcnt(9)
	ds_write_b32 v50, v16
	v_add_nc_u32_sdwa v16, v8, v33 dst_sel:DWORD dst_unused:UNUSED_PAD src0_sel:DWORD src1_sel:WORD_0
	v_ashrrev_i32_e32 v4, 31, v3
	v_mul_lo_u16 v5, v39, 46
	v_add_nc_u32_sdwa v18, v16, v31 dst_sel:DWORD dst_unused:UNUSED_PAD src0_sel:DWORD src1_sel:WORD_0
	v_lshlrev_b64 v[3:4], 2, v[3:4]
	v_sub_nc_u16 v40, v23, v5
	v_and_b32_e32 v5, 0xff, v35
	v_or_b32_e32 v33, 0xffffff80, v40
	v_add_co_u32 v21, vcc_lo, s0, v3
	v_add_co_ci_u32_e64 v22, null, s2, v4, vcc_lo
	v_lshrrev_b16 v4, 1, v33
	v_mad_u64_u32 v[19:20], null, v8, s1, v[2:3]
	v_and_b32_e32 v3, 0xff, v29
	v_lshlrev_b32_e32 v2, 2, v2
	v_and_b32_e32 v4, 0x7f, v4
	v_ashrrev_i32_e32 v20, 31, v19
	v_mad_u64_u32 v[25:26], null, v18, s1, v[3:4]
	s_waitcnt vmcnt(8)
	ds_write_b32 v51, v13
	v_add_nc_u32_sdwa v13, v18, v32 dst_sel:DWORD dst_unused:UNUSED_PAD src0_sel:DWORD src1_sel:WORD_0
	v_lshlrev_b64 v[19:20], 2, v[19:20]
	v_lshlrev_b32_e32 v3, 2, v3
	v_ashrrev_i32_e32 v26, 31, v25
	v_add_nc_u32_sdwa v45, v13, v45 dst_sel:DWORD dst_unused:UNUSED_PAD src0_sel:DWORD src1_sel:WORD_0
	v_add_co_u32 v19, vcc_lo, s0, v19
	v_add_co_ci_u32_e64 v20, null, s2, v20, vcc_lo
	v_lshlrev_b64 v[25:26], 2, v[25:26]
	s_waitcnt vmcnt(7)
	ds_write_b32 v37, v17
	s_waitcnt vmcnt(6)
	ds_write_b32 v38, v10
	v_and_b32_e32 v17, 0xff, v44
	v_add_nc_u32_sdwa v44, v45, v47 dst_sel:DWORD dst_unused:UNUSED_PAD src0_sel:DWORD src1_sel:WORD_0
	v_add_nc_u32_sdwa v49, v44, v49 dst_sel:DWORD dst_unused:UNUSED_PAD src0_sel:DWORD src1_sel:WORD_0
	s_waitcnt vmcnt(5)
	ds_write_b32 v48, v11
	s_waitcnt vmcnt(0)
	v_mad_u64_u32 v[23:24], null, v16, s1, v[5:6]
	v_mul_lo_u16 v24, 0xb3, v4
	v_and_b32_e32 v4, 0xff, v30
	v_lshrrev_b16 v32, 12, v24
	v_mad_u64_u32 v[27:28], null, v13, s1, v[4:5]
	v_ashrrev_i32_e32 v24, 31, v23
	v_lshlrev_b32_e32 v5, 2, v5
	v_mul_lo_u16 v28, v32, 46
	v_lshlrev_b64 v[23:24], 2, v[23:24]
	v_sub_nc_u16 v33, v33, v28
	v_ashrrev_i32_e32 v28, 31, v27
	v_add_co_u32 v23, vcc_lo, s0, v23
	v_or_b32_e32 v35, 0xffffff80, v33
	v_lshlrev_b64 v[27:28], 2, v[27:28]
	v_add_co_ci_u32_e64 v24, null, s2, v24, vcc_lo
	v_add_co_u32 v25, vcc_lo, s0, v25
	v_lshrrev_b16 v10, 1, v35
	v_add_co_ci_u32_e64 v26, null, s2, v26, vcc_lo
	v_and_b32_e32 v29, 0x7f, v10
	v_add_co_u32 v10, vcc_lo, s0, v27
	v_add_co_ci_u32_e64 v11, null, s2, v28, vcc_lo
	v_mul_lo_u16 v37, 0xb3, v29
	v_mad_u64_u32 v[28:29], null, v45, s1, v[17:18]
	v_and_b32_e32 v27, 0xff, v46
	s_clause 0x4
	global_load_dword v46, v[21:22], off
	global_load_dword v47, v[19:20], off
	;; [unrolled: 1-line block ×5, first 2 shown]
	v_lshrrev_b16 v37, 12, v37
	ds_write_b32 v52, v12
	ds_write_b32 v34, v9
	v_add_nc_u32_sdwa v52, v49, v39 dst_sel:DWORD dst_unused:UNUSED_PAD src0_sel:DWORD src1_sel:WORD_0
	v_ashrrev_i32_e32 v29, 31, v28
	v_mul_lo_u16 v11, v37, 46
	v_mad_u64_u32 v[30:31], null, v44, s1, v[27:28]
	ds_write_b32 v41, v7
	v_add_nc_u32_sdwa v54, v52, v32 dst_sel:DWORD dst_unused:UNUSED_PAD src0_sel:DWORD src1_sel:WORD_0
	v_sub_nc_u16 v35, v35, v11
	v_lshlrev_b64 v[11:12], 2, v[28:29]
	v_and_b32_e32 v7, 0xff, v33
	ds_write_b32 v43, v14
	v_ashrrev_i32_e32 v31, 31, v30
	v_or_b32_e32 v28, 0xffffff80, v35
	ds_write_b32 v53, v6
	v_add_nc_u32_sdwa v55, v54, v37 dst_sel:DWORD dst_unused:UNUSED_PAD src0_sel:DWORD src1_sel:WORD_0
	v_and_b32_e32 v14, 0xff, v35
	v_lshlrev_b64 v[19:20], 2, v[30:31]
	v_lshrrev_b16 v9, 1, v28
	v_and_b32_e32 v10, 0xff, v36
	v_and_b32_e32 v23, 0x7f, v9
	;; [unrolled: 1-line block ×3, first 2 shown]
	v_mad_u64_u32 v[21:22], null, v49, s1, v[10:11]
	v_add_co_u32 v11, vcc_lo, s0, v11
	v_mul_lo_u16 v25, 0xb3, v23
	v_mad_u64_u32 v[23:24], null, v52, s1, v[9:10]
	v_add_co_ci_u32_e64 v12, null, s2, v12, vcc_lo
	v_lshrrev_b16 v30, 12, v25
	v_mad_u64_u32 v[25:26], null, v54, s1, v[7:8]
	v_ashrrev_i32_e32 v22, 31, v21
	v_ashrrev_i32_e32 v24, 31, v23
	v_mul_lo_u16 v26, v30, 46
	v_add_nc_u32_sdwa v56, v55, v30 dst_sel:DWORD dst_unused:UNUSED_PAD src0_sel:DWORD src1_sel:WORD_0
	v_add_co_u32 v19, vcc_lo, s0, v19
	v_lshlrev_b64 v[21:22], 2, v[21:22]
	v_sub_nc_u16 v31, v28, v26
	v_mad_u64_u32 v[28:29], null, v55, s1, v[14:15]
	v_ashrrev_i32_e32 v26, 31, v25
	v_lshlrev_b64 v[23:24], 2, v[23:24]
	v_or_b32_e32 v33, 0xffffff80, v31
	v_and_b32_e32 v30, 0xff, v31
	v_add_co_ci_u32_e64 v20, null, s2, v20, vcc_lo
	v_ashrrev_i32_e32 v29, 31, v28
	v_lshrrev_b16 v32, 1, v33
	v_lshlrev_b64 v[25:26], 2, v[25:26]
	v_add_co_u32 v21, vcc_lo, s0, v21
	v_lshlrev_b64 v[28:29], 2, v[28:29]
	v_and_b32_e32 v34, 0x7f, v32
	v_mad_u64_u32 v[31:32], null, v56, s1, v[30:31]
	v_add_co_ci_u32_e64 v22, null, s2, v22, vcc_lo
	v_mul_lo_u16 v6, 0xb3, v34
	v_add_co_u32 v23, vcc_lo, s0, v23
	v_add_co_ci_u32_e64 v24, null, s2, v24, vcc_lo
	v_lshrrev_b16 v6, 12, v6
	v_ashrrev_i32_e32 v32, 31, v31
	v_add_co_u32 v25, vcc_lo, s0, v25
	v_add_co_ci_u32_e64 v26, null, s2, v26, vcc_lo
	v_mul_lo_u16 v34, v6, 46
	v_add_nc_u32_sdwa v53, v56, v6 dst_sel:DWORD dst_unused:UNUSED_PAD src0_sel:DWORD src1_sel:WORD_0
	v_lshlrev_b64 v[31:32], 2, v[31:32]
	v_add_co_u32 v28, vcc_lo, s0, v28
	v_sub_nc_u16 v35, v33, v34
	v_add_co_ci_u32_e64 v29, null, s2, v29, vcc_lo
	v_add_co_u32 v31, vcc_lo, s0, v31
	v_and_b32_e32 v6, 0xff, v35
	v_or_b32_e32 v35, 0xffffff80, v35
	v_add_co_ci_u32_e64 v32, null, s2, v32, vcc_lo
	v_mul_lo_u32 v8, 0xb8, v8
	v_mad_u64_u32 v[33:34], null, v53, s1, v[6:7]
	v_lshrrev_b16 v36, 1, v35
	v_mul_lo_u32 v15, 0xb8, v15
	v_lshlrev_b32_e32 v7, 2, v7
	v_lshlrev_b32_e32 v6, 2, v6
	v_and_b32_e32 v36, 0x7f, v36
	v_ashrrev_i32_e32 v34, 31, v33
	v_add3_u32 v2, 0, v8, v2
	v_mul_lo_u32 v8, 0xb8, v16
	v_add3_u32 v1, 0, v15, v1
	v_mul_lo_u16 v36, 0xb3, v36
	v_lshlrev_b64 v[33:34], 2, v[33:34]
	v_mul_lo_u32 v15, 0xb8, v49
	v_lshrrev_b16 v36, 12, v36
	v_add3_u32 v5, 0, v8, v5
	v_add_co_u32 v33, vcc_lo, s0, v33
	v_add_co_ci_u32_e64 v34, null, s2, v34, vcc_lo
	v_mul_lo_u16 v37, v36, 46
	v_add_nc_u32_sdwa v57, v53, v36 dst_sel:DWORD dst_unused:UNUSED_PAD src0_sel:DWORD src1_sel:WORD_0
	v_mul_lo_u32 v8, 0xb8, v18
	v_sub_nc_u16 v38, v35, v37
	v_and_b32_e32 v35, 0xff, v38
	v_or_b32_e32 v38, 0xffffff80, v38
	v_mad_u64_u32 v[36:37], null, v57, s1, v[35:36]
	v_lshrrev_b16 v39, 1, v38
	v_and_b32_e32 v39, 0x7f, v39
	v_ashrrev_i32_e32 v37, 31, v36
	v_mul_lo_u16 v39, 0xb3, v39
	v_lshlrev_b64 v[36:37], 2, v[36:37]
	v_lshrrev_b16 v39, 12, v39
	v_add_co_u32 v36, vcc_lo, s0, v36
	v_add_co_ci_u32_e64 v37, null, s2, v37, vcc_lo
	v_mul_lo_u16 v40, v39, 46
	v_add_nc_u32_sdwa v58, v57, v39 dst_sel:DWORD dst_unused:UNUSED_PAD src0_sel:DWORD src1_sel:WORD_0
	v_sub_nc_u16 v41, v38, v40
	v_and_b32_e32 v38, 0xff, v41
	v_or_b32_e32 v41, 0xffffff80, v41
	v_mad_u64_u32 v[39:40], null, v58, s1, v[38:39]
	v_lshrrev_b16 v42, 1, v41
	v_and_b32_e32 v42, 0x7f, v42
	v_ashrrev_i32_e32 v40, 31, v39
	v_mul_lo_u16 v42, 0xb3, v42
	v_lshlrev_b64 v[39:40], 2, v[39:40]
	v_lshrrev_b16 v42, 12, v42
	v_add_co_u32 v39, vcc_lo, s0, v39
	v_add_co_ci_u32_e64 v40, null, s2, v40, vcc_lo
	v_mul_lo_u16 v43, v42, 46
	v_add_nc_u32_sdwa v60, v58, v42 dst_sel:DWORD dst_unused:UNUSED_PAD src0_sel:DWORD src1_sel:WORD_0
	v_sub_nc_u16 v59, v41, v43
	v_and_b32_e32 v41, 0xff, v59
	v_mad_u64_u32 v[42:43], null, v60, s1, v[41:42]
	v_ashrrev_i32_e32 v43, 31, v42
	v_lshlrev_b64 v[42:43], 2, v[42:43]
	v_add_co_u32 v42, vcc_lo, s0, v42
	v_add_co_ci_u32_e64 v43, null, s2, v43, vcc_lo
	s_clause 0xa
	global_load_dword v11, v[11:12], off
	global_load_dword v12, v[19:20], off
	;; [unrolled: 1-line block ×11, first 2 shown]
	s_waitcnt vmcnt(15)
	ds_write_b32 v1, v46
	s_waitcnt vmcnt(14)
	ds_write_b32 v2, v47
	;; [unrolled: 2-line block ×3, first 2 shown]
	v_add3_u32 v1, 0, v8, v3
	v_mul_lo_u32 v2, 0xb8, v13
	v_lshlrev_b32_e32 v3, 2, v4
	v_mul_lo_u32 v4, 0xb8, v45
	v_mul_lo_u32 v5, 0xb8, v44
	v_lshlrev_b32_e32 v8, 2, v17
	v_lshlrev_b32_e32 v13, 2, v27
	s_waitcnt vmcnt(12)
	ds_write_b32 v1, v50
	v_add3_u32 v1, 0, v2, v3
	v_lshlrev_b32_e32 v2, 2, v10
	v_add3_u32 v3, 0, v4, v8
	v_add3_u32 v4, 0, v5, v13
	v_mul_lo_u32 v5, 0xb8, v52
	s_waitcnt vmcnt(11)
	ds_write_b32 v1, v51
	v_add3_u32 v1, 0, v15, v2
	v_lshlrev_b32_e32 v2, 2, v9
	v_mul_lo_u32 v9, 0xb8, v56
	v_lshlrev_b32_e32 v8, 2, v14
	v_lshlrev_b32_e32 v10, 2, v41
	s_waitcnt vmcnt(10)
	ds_write_b32 v3, v11
	s_waitcnt vmcnt(9)
	ds_write_b32 v4, v12
	v_or_b32_e32 v3, 0xffffff80, v59
	s_waitcnt vmcnt(8)
	ds_write_b32 v1, v19
	v_add3_u32 v1, 0, v5, v2
	v_mul_lo_u32 v2, 0xb8, v54
	v_mul_lo_u32 v4, 0xb8, v55
	v_lshrrev_b16 v5, 1, v3
	s_waitcnt vmcnt(7)
	ds_write_b32 v1, v20
	v_and_b32_e32 v1, 0x7f, v5
	v_lshlrev_b32_e32 v5, 2, v30
	v_add3_u32 v2, 0, v2, v7
	v_add3_u32 v4, 0, v4, v8
	v_mul_lo_u32 v7, 0xb8, v53
	v_mul_lo_u16 v1, 0xb3, v1
	v_add3_u32 v5, 0, v9, v5
	s_waitcnt vmcnt(6)
	ds_write_b32 v2, v21
	s_waitcnt vmcnt(5)
	ds_write_b32 v4, v22
	v_lshlrev_b32_e32 v8, 2, v35
	v_lshlrev_b32_e32 v9, 2, v38
	v_lshrrev_b16 v1, 12, v1
	s_waitcnt vmcnt(4)
	ds_write_b32 v5, v23
	v_mul_lo_u32 v5, 0xb8, v57
	v_add3_u32 v4, 0, v7, v6
	v_mul_lo_u32 v6, 0xb8, v58
	v_mul_lo_u16 v2, v1, 46
	v_mul_lo_u32 v7, 0xb8, v60
	v_sub_nc_u16 v3, v3, v2
	v_add_nc_u32_sdwa v2, v60, v1 dst_sel:DWORD dst_unused:UNUSED_PAD src0_sel:DWORD src1_sel:WORD_0
	v_add3_u32 v5, 0, v5, v8
	v_add3_u32 v6, 0, v6, v9
	v_add3_u32 v7, 0, v7, v10
	v_and_b32_e32 v1, 0xff, v3
	s_waitcnt vmcnt(3)
	ds_write_b32 v4, v24
	s_waitcnt vmcnt(2)
	ds_write_b32 v5, v25
	;; [unrolled: 2-line block ×4, first 2 shown]
	v_cmpx_gt_u32_e32 0x80, v2
	s_cbranch_execz .LBB19_2
; %bb.1:
	v_mad_u64_u32 v[3:4], null, v2, s1, v[1:2]
	v_lshlrev_b32_e32 v5, 2, v1
	v_ashrrev_i32_e32 v4, 31, v3
	v_lshlrev_b64 v[3:4], 2, v[3:4]
	v_add_co_u32 v3, vcc_lo, s0, v3
	v_add_co_ci_u32_e64 v4, null, s2, v4, vcc_lo
	global_load_dword v3, v[3:4], off
	v_mul_lo_u32 v4, 0xb8, v2
	v_add3_u32 v4, 0, v4, v5
	s_waitcnt vmcnt(0)
	ds_write_b32 v4, v3
.LBB19_2:
	s_or_b32 exec_lo, exec_lo, s7
	v_or_b32_e32 v1, 0xffffff80, v1
	s_mov_b32 s7, exec_lo
	v_lshrrev_b16 v3, 1, v1
	v_and_b32_e32 v3, 0x7f, v3
	v_mul_lo_u16 v3, 0xb3, v3
	v_lshrrev_b16 v3, 12, v3
	v_mul_lo_u16 v4, v3, 46
	v_add_nc_u32_sdwa v2, v2, v3 dst_sel:DWORD dst_unused:UNUSED_PAD src0_sel:DWORD src1_sel:WORD_0
	v_sub_nc_u16 v1, v1, v4
	v_and_b32_e32 v1, 0xff, v1
	v_cmpx_gt_u32_e32 0x80, v2
	s_cbranch_execz .LBB19_4
; %bb.3:
	v_mad_u64_u32 v[3:4], null, v2, s1, v[1:2]
	v_lshlrev_b32_e32 v5, 2, v1
	v_ashrrev_i32_e32 v4, 31, v3
	v_lshlrev_b64 v[3:4], 2, v[3:4]
	v_add_co_u32 v3, vcc_lo, s0, v3
	v_add_co_ci_u32_e64 v4, null, s2, v4, vcc_lo
	global_load_dword v3, v[3:4], off
	v_mul_lo_u32 v4, 0xb8, v2
	v_add3_u32 v4, 0, v4, v5
	s_waitcnt vmcnt(0)
	ds_write_b32 v4, v3
.LBB19_4:
	s_or_b32 exec_lo, exec_lo, s7
	v_or_b32_e32 v1, 0xffffff80, v1
	s_mov_b32 s7, exec_lo
	v_lshrrev_b16 v3, 1, v1
	v_and_b32_e32 v3, 0x7f, v3
	v_mul_lo_u16 v3, 0xb3, v3
	v_lshrrev_b16 v3, 12, v3
	v_mul_lo_u16 v4, v3, 46
	v_add_nc_u32_sdwa v2, v2, v3 dst_sel:DWORD dst_unused:UNUSED_PAD src0_sel:DWORD src1_sel:WORD_0
	v_sub_nc_u16 v1, v1, v4
	v_and_b32_e32 v1, 0xff, v1
	;; [unrolled: 26-line block ×11, first 2 shown]
	v_cmpx_gt_u32_e32 0x80, v2
	s_cbranch_execz .LBB19_24
; %bb.23:
	v_mad_u64_u32 v[3:4], null, v2, s1, v[1:2]
	v_lshlrev_b32_e32 v5, 2, v1
	v_ashrrev_i32_e32 v4, 31, v3
	v_lshlrev_b64 v[3:4], 2, v[3:4]
	v_add_co_u32 v3, vcc_lo, s0, v3
	v_add_co_ci_u32_e64 v4, null, s2, v4, vcc_lo
	global_load_dword v3, v[3:4], off
	v_mul_lo_u32 v4, 0xb8, v2
	v_add3_u32 v4, 0, v4, v5
	s_waitcnt vmcnt(0)
	ds_write_b32 v4, v3
.LBB19_24:
	s_or_b32 exec_lo, exec_lo, s7
	s_clause 0x1
	s_load_dwordx4 s[8:11], s[4:5], 0x8
	s_load_dwordx2 s[16:17], s[4:5], 0x28
	s_mov_b32 s7, exec_lo
	v_cmpx_gt_u32_e32 0x380, v0
	s_cbranch_execz .LBB19_45
; %bb.25:
	v_or_b32_e32 v1, 0xffffff80, v1
	s_mov_b32 s18, exec_lo
	v_lshrrev_b16 v3, 1, v1
	v_and_b32_e32 v3, 0x7f, v3
	v_mul_lo_u16 v3, 0xb3, v3
	v_lshrrev_b16 v3, 12, v3
	v_mul_lo_u16 v4, v3, 46
	v_add_nc_u32_sdwa v2, v2, v3 dst_sel:DWORD dst_unused:UNUSED_PAD src0_sel:DWORD src1_sel:WORD_0
	v_sub_nc_u16 v1, v1, v4
	v_and_b32_e32 v1, 0xff, v1
	v_cmpx_gt_u32_e32 0x80, v2
	s_cbranch_execz .LBB19_27
; %bb.26:
	v_mad_u64_u32 v[3:4], null, v2, s1, v[1:2]
	v_lshlrev_b32_e32 v5, 2, v1
	v_ashrrev_i32_e32 v4, 31, v3
	v_lshlrev_b64 v[3:4], 2, v[3:4]
	v_add_co_u32 v3, vcc_lo, s0, v3
	v_add_co_ci_u32_e64 v4, null, s2, v4, vcc_lo
	global_load_dword v3, v[3:4], off
	v_mul_lo_u32 v4, 0xb8, v2
	v_add3_u32 v4, 0, v4, v5
	s_waitcnt vmcnt(0)
	ds_write_b32 v4, v3
.LBB19_27:
	s_or_b32 exec_lo, exec_lo, s18
	v_cmp_gt_u32_e32 vcc_lo, 0x300, v0
	s_and_b32 exec_lo, exec_lo, vcc_lo
	s_cbranch_execz .LBB19_45
; %bb.28:
	v_or_b32_e32 v1, 0xffffff80, v1
	s_mov_b32 s18, exec_lo
	v_lshrrev_b16 v3, 1, v1
	v_and_b32_e32 v3, 0x7f, v3
	v_mul_lo_u16 v3, 0xb3, v3
	v_lshrrev_b16 v3, 12, v3
	v_mul_lo_u16 v4, v3, 46
	v_add_nc_u32_sdwa v2, v2, v3 dst_sel:DWORD dst_unused:UNUSED_PAD src0_sel:DWORD src1_sel:WORD_0
	v_sub_nc_u16 v1, v1, v4
	v_and_b32_e32 v1, 0xff, v1
	v_cmpx_gt_u32_e32 0x80, v2
	s_cbranch_execz .LBB19_30
; %bb.29:
	v_mad_u64_u32 v[3:4], null, v2, s1, v[1:2]
	v_lshlrev_b32_e32 v5, 2, v1
	v_ashrrev_i32_e32 v4, 31, v3
	v_lshlrev_b64 v[3:4], 2, v[3:4]
	v_add_co_u32 v3, vcc_lo, s0, v3
	v_add_co_ci_u32_e64 v4, null, s2, v4, vcc_lo
	global_load_dword v3, v[3:4], off
	v_mul_lo_u32 v4, 0xb8, v2
	v_add3_u32 v4, 0, v4, v5
	s_waitcnt vmcnt(0)
	ds_write_b32 v4, v3
.LBB19_30:
	s_or_b32 exec_lo, exec_lo, s18
	v_cmp_gt_u32_e32 vcc_lo, 0x280, v0
	s_and_b32 exec_lo, exec_lo, vcc_lo
	;; [unrolled: 30-line block ×6, first 2 shown]
	s_cbranch_execz .LBB19_45
; %bb.43:
	v_or_b32_e32 v3, 0x80, v1
	v_lshrrev_b16 v1, 1, v3
	v_mul_lo_u16 v1, 0xb3, v1
	v_lshrrev_b16 v4, 12, v1
	v_add_nc_u32_sdwa v1, v2, v4 dst_sel:DWORD dst_unused:UNUSED_PAD src0_sel:DWORD src1_sel:WORD_0
	v_cmp_gt_u32_e32 vcc_lo, 0x80, v1
	s_and_b32 exec_lo, exec_lo, vcc_lo
	s_cbranch_execz .LBB19_45
; %bb.44:
	v_mul_lo_u16 v2, v4, 46
	v_sub_nc_u16 v2, v3, v2
	v_and_b32_e32 v2, 0xff, v2
	v_mad_u64_u32 v[3:4], null, v1, s1, v[2:3]
	v_mul_lo_u32 v1, 0xb8, v1
	v_lshlrev_b32_e32 v2, 2, v2
	v_ashrrev_i32_e32 v4, 31, v3
	v_add3_u32 v1, 0, v1, v2
	v_lshlrev_b64 v[3:4], 2, v[3:4]
	v_add_co_u32 v3, vcc_lo, s0, v3
	v_add_co_ci_u32_e64 v4, null, s2, v4, vcc_lo
	global_load_dword v3, v[3:4], off
	s_waitcnt vmcnt(0)
	ds_write_b32 v1, v3
.LBB19_45:
	s_or_b32 exec_lo, exec_lo, s7
	s_ashr_i32 s0, s3, 31
	s_mul_hi_u32 s1, s12, s3
	s_mul_i32 s0, s12, s0
	s_mul_i32 s2, s13, s3
	s_add_i32 s0, s1, s0
	s_mul_i32 s1, s12, s3
	s_add_i32 s0, s0, s2
	s_waitcnt lgkmcnt(0)
	s_add_u32 s1, s8, s1
	s_addc_u32 s0, s9, s0
	s_ashr_i32 s2, s3, 2
	v_mul_lo_u32 v1, s2, v0
	s_barrier
	buffer_gl0_inv
	v_lshlrev_b32_e32 v17, 2, v0
	s_cmp_eq_u64 s[10:11], 0
	v_ashrrev_i32_e32 v2, 31, v1
	v_lshlrev_b64 v[1:2], 2, v[1:2]
	v_add_co_u32 v9, vcc_lo, s1, v1
	v_add_co_ci_u32_e64 v10, null, s0, v2, vcc_lo
	s_clause 0x3
	global_load_dwordx3 v[13:15], v[9:10], off offset:48
	global_load_dwordx4 v[1:4], v[9:10], off offset:32
	global_load_dwordx4 v[5:8], v[9:10], off offset:16
	global_load_dwordx4 v[9:12], v[9:10], off
	s_cbranch_scc1 .LBB19_47
; %bb.46:
	s_lshl_b64 s[0:1], s[12:13], 2
	s_add_u32 s0, s10, s0
	s_addc_u32 s1, s11, s1
	global_load_dword v20, v17, s[0:1]
	s_branch .LBB19_48
.LBB19_47:
	v_mov_b32_e32 v20, 0
.LBB19_48:
	s_load_dwordx2 s[0:1], s[4:5], 0x40
	s_waitcnt lgkmcnt(0)
	s_sub_u32 s8, s0, s14
	s_subb_u32 s9, s1, s15
	v_cmp_lt_i64_e64 s0, s[8:9], 1
	s_and_b32 vcc_lo, exec_lo, s0
	s_cbranch_vccnz .LBB19_51
; %bb.49:
	s_load_dwordx4 s[0:3], s[4:5], 0x30
	v_mad_u32_u24 v0, 0xb8, v0, 0
	v_cmp_lt_u64_e64 s4, s[8:9], 32
	ds_read_b32 v16, v0
	s_waitcnt lgkmcnt(0)
	s_ashr_i32 s3, s1, 31
	s_ashr_i32 s11, s0, 31
	s_mul_i32 s5, s2, s6
	s_mul_hi_u32 s6, s14, s1
	s_mul_i32 s7, s15, s1
	s_mul_i32 s10, s14, s1
	s_mul_hi_u32 s15, s12, s0
	s_mul_i32 s13, s13, s0
	s_mul_i32 s18, s12, s0
	s_ashr_i32 s2, s1, 2
	s_mul_i32 s0, s14, s3
	s_mul_i32 s1, s12, s11
	s_add_i32 s0, s6, s0
	s_add_i32 s1, s15, s1
	s_ashr_i32 s19, s5, 31
	s_ashr_i32 s3, s2, 31
	s_add_i32 s6, s0, s7
	s_add_i32 s7, s1, s13
	s_and_b32 s0, s4, exec_lo
	s_cselect_b32 s1, s9, 0
	s_cselect_b32 s0, s8, 32
	s_add_u32 s4, s18, s10
	s_addc_u32 s6, s7, s6
	s_add_u32 s5, s16, s5
	s_addc_u32 s7, s17, s19
	;; [unrolled: 2-line block ×3, first 2 shown]
	v_add_co_u32 v18, s4, s4, v17
	v_add_co_ci_u32_e64 v19, null, s5, 0, s4
	s_lshl_b64 s[2:3], s[2:3], 2
	s_inst_prefetch 0x1
	.p2align	6
.LBB19_50:                              ; =>This Inner Loop Header: Depth=1
	s_waitcnt vmcnt(0)
	v_fma_f32 v33, v9, v16, 0
	ds_read2_b32 v[16:17], v0 offset0:1 offset1:2
	ds_read2_b32 v[21:22], v0 offset0:3 offset1:4
	;; [unrolled: 1-line block ×7, first 2 shown]
	v_add_nc_u32_e32 v34, 4, v0
	s_add_u32 s0, s0, -1
	s_addc_u32 s1, s1, -1
	s_cmp_lg_u64 s[0:1], 0
	v_mov_b32_e32 v0, v34
	s_waitcnt lgkmcnt(6)
	v_fmac_f32_e32 v33, v10, v16
	v_fmac_f32_e32 v33, v11, v17
	s_waitcnt lgkmcnt(5)
	v_fmac_f32_e32 v33, v12, v21
	v_fmac_f32_e32 v33, v5, v22
	s_waitcnt lgkmcnt(4)
	v_fmac_f32_e32 v33, v6, v23
	v_fmac_f32_e32 v33, v7, v24
	s_waitcnt lgkmcnt(3)
	v_fmac_f32_e32 v33, v8, v25
	v_fmac_f32_e32 v33, v1, v26
	s_waitcnt lgkmcnt(2)
	v_fmac_f32_e32 v33, v2, v27
	v_fmac_f32_e32 v33, v3, v28
	s_waitcnt lgkmcnt(1)
	v_fmac_f32_e32 v33, v4, v29
	v_fmac_f32_e32 v33, v13, v30
	s_waitcnt lgkmcnt(0)
	v_fmac_f32_e32 v33, v14, v31
	v_fmac_f32_e32 v33, v15, v32
	v_add_f32_e32 v17, v20, v33
	global_store_dword v[18:19], v17, off
	v_add_co_u32 v18, vcc_lo, v18, s2
	v_add_co_ci_u32_e64 v19, null, s3, v19, vcc_lo
	s_cbranch_scc1 .LBB19_50
.LBB19_51:
	s_inst_prefetch 0x2
	s_endpgm
	.section	.rodata,"a",@progbits
	.p2align	6, 0x0
	.amdhsa_kernel _ZL23ssm_conv_long_token_f32ILb0ELm128ELm15ELl32EEvPKfS1_S1_iiiiPfiiil
		.amdhsa_group_segment_fixed_size 0
		.amdhsa_private_segment_fixed_size 0
		.amdhsa_kernarg_size 72
		.amdhsa_user_sgpr_count 6
		.amdhsa_user_sgpr_private_segment_buffer 1
		.amdhsa_user_sgpr_dispatch_ptr 0
		.amdhsa_user_sgpr_queue_ptr 0
		.amdhsa_user_sgpr_kernarg_segment_ptr 1
		.amdhsa_user_sgpr_dispatch_id 0
		.amdhsa_user_sgpr_flat_scratch_init 0
		.amdhsa_user_sgpr_private_segment_size 0
		.amdhsa_wavefront_size32 1
		.amdhsa_uses_dynamic_stack 0
		.amdhsa_system_sgpr_private_segment_wavefront_offset 0
		.amdhsa_system_sgpr_workgroup_id_x 1
		.amdhsa_system_sgpr_workgroup_id_y 1
		.amdhsa_system_sgpr_workgroup_id_z 1
		.amdhsa_system_sgpr_workgroup_info 0
		.amdhsa_system_vgpr_workitem_id 0
		.amdhsa_next_free_vgpr 61
		.amdhsa_next_free_sgpr 20
		.amdhsa_reserve_vcc 1
		.amdhsa_reserve_flat_scratch 0
		.amdhsa_float_round_mode_32 0
		.amdhsa_float_round_mode_16_64 0
		.amdhsa_float_denorm_mode_32 3
		.amdhsa_float_denorm_mode_16_64 3
		.amdhsa_dx10_clamp 1
		.amdhsa_ieee_mode 1
		.amdhsa_fp16_overflow 0
		.amdhsa_workgroup_processor_mode 1
		.amdhsa_memory_ordered 1
		.amdhsa_forward_progress 1
		.amdhsa_shared_vgpr_count 0
		.amdhsa_exception_fp_ieee_invalid_op 0
		.amdhsa_exception_fp_denorm_src 0
		.amdhsa_exception_fp_ieee_div_zero 0
		.amdhsa_exception_fp_ieee_overflow 0
		.amdhsa_exception_fp_ieee_underflow 0
		.amdhsa_exception_fp_ieee_inexact 0
		.amdhsa_exception_int_div_zero 0
	.end_amdhsa_kernel
	.section	.text._ZL23ssm_conv_long_token_f32ILb0ELm128ELm15ELl32EEvPKfS1_S1_iiiiPfiiil,"axG",@progbits,_ZL23ssm_conv_long_token_f32ILb0ELm128ELm15ELl32EEvPKfS1_S1_iiiiPfiiil,comdat
.Lfunc_end19:
	.size	_ZL23ssm_conv_long_token_f32ILb0ELm128ELm15ELl32EEvPKfS1_S1_iiiiPfiiil, .Lfunc_end19-_ZL23ssm_conv_long_token_f32ILb0ELm128ELm15ELl32EEvPKfS1_S1_iiiiPfiiil
                                        ; -- End function
	.set _ZL23ssm_conv_long_token_f32ILb0ELm128ELm15ELl32EEvPKfS1_S1_iiiiPfiiil.num_vgpr, 61
	.set _ZL23ssm_conv_long_token_f32ILb0ELm128ELm15ELl32EEvPKfS1_S1_iiiiPfiiil.num_agpr, 0
	.set _ZL23ssm_conv_long_token_f32ILb0ELm128ELm15ELl32EEvPKfS1_S1_iiiiPfiiil.numbered_sgpr, 20
	.set _ZL23ssm_conv_long_token_f32ILb0ELm128ELm15ELl32EEvPKfS1_S1_iiiiPfiiil.num_named_barrier, 0
	.set _ZL23ssm_conv_long_token_f32ILb0ELm128ELm15ELl32EEvPKfS1_S1_iiiiPfiiil.private_seg_size, 0
	.set _ZL23ssm_conv_long_token_f32ILb0ELm128ELm15ELl32EEvPKfS1_S1_iiiiPfiiil.uses_vcc, 1
	.set _ZL23ssm_conv_long_token_f32ILb0ELm128ELm15ELl32EEvPKfS1_S1_iiiiPfiiil.uses_flat_scratch, 0
	.set _ZL23ssm_conv_long_token_f32ILb0ELm128ELm15ELl32EEvPKfS1_S1_iiiiPfiiil.has_dyn_sized_stack, 0
	.set _ZL23ssm_conv_long_token_f32ILb0ELm128ELm15ELl32EEvPKfS1_S1_iiiiPfiiil.has_recursion, 0
	.set _ZL23ssm_conv_long_token_f32ILb0ELm128ELm15ELl32EEvPKfS1_S1_iiiiPfiiil.has_indirect_call, 0
	.section	.AMDGPU.csdata,"",@progbits
; Kernel info:
; codeLenInByte = 8404
; TotalNumSgprs: 22
; NumVgprs: 61
; ScratchSize: 0
; MemoryBound: 0
; FloatMode: 240
; IeeeMode: 1
; LDSByteSize: 0 bytes/workgroup (compile time only)
; SGPRBlocks: 0
; VGPRBlocks: 7
; NumSGPRsForWavesPerEU: 22
; NumVGPRsForWavesPerEU: 61
; Occupancy: 16
; WaveLimiterHint : 0
; COMPUTE_PGM_RSRC2:SCRATCH_EN: 0
; COMPUTE_PGM_RSRC2:USER_SGPR: 6
; COMPUTE_PGM_RSRC2:TRAP_HANDLER: 0
; COMPUTE_PGM_RSRC2:TGID_X_EN: 1
; COMPUTE_PGM_RSRC2:TGID_Y_EN: 1
; COMPUTE_PGM_RSRC2:TGID_Z_EN: 1
; COMPUTE_PGM_RSRC2:TIDIG_COMP_CNT: 0
	.section	.AMDGPU.gpr_maximums,"",@progbits
	.set amdgpu.max_num_vgpr, 0
	.set amdgpu.max_num_agpr, 0
	.set amdgpu.max_num_sgpr, 0
	.section	.AMDGPU.csdata,"",@progbits
	.type	__hip_cuid_ac971db4b1907f44,@object ; @__hip_cuid_ac971db4b1907f44
	.section	.bss,"aw",@nobits
	.globl	__hip_cuid_ac971db4b1907f44
__hip_cuid_ac971db4b1907f44:
	.byte	0                               ; 0x0
	.size	__hip_cuid_ac971db4b1907f44, 1

	.ident	"AMD clang version 22.0.0git (https://github.com/RadeonOpenCompute/llvm-project roc-7.2.4 26084 f58b06dce1f9c15707c5f808fd002e18c2accf7e)"
	.section	".note.GNU-stack","",@progbits
	.addrsig
	.addrsig_sym __hip_cuid_ac971db4b1907f44
	.amdgpu_metadata
---
amdhsa.kernels:
  - .args:
      - .address_space:  global
        .offset:         0
        .size:           8
        .value_kind:     global_buffer
      - .address_space:  global
        .offset:         8
        .size:           8
        .value_kind:     global_buffer
      - .address_space:  global
        .offset:         16
        .size:           8
        .value_kind:     global_buffer
      - .offset:         24
        .size:           4
        .value_kind:     by_value
      - .offset:         28
        .size:           4
        .value_kind:     by_value
      - .offset:         32
        .size:           4
        .value_kind:     by_value
      - .offset:         36
        .size:           4
        .value_kind:     by_value
      - .address_space:  global
        .offset:         40
        .size:           8
        .value_kind:     global_buffer
      - .offset:         48
        .size:           4
        .value_kind:     by_value
      - .offset:         52
        .size:           4
        .value_kind:     by_value
      - .offset:         56
        .size:           4
        .value_kind:     by_value
      - .offset:         64
        .size:           8
        .value_kind:     by_value
    .group_segment_fixed_size: 0
    .kernarg_segment_align: 8
    .kernarg_segment_size: 72
    .language:       OpenCL C
    .language_version:
      - 2
      - 0
    .max_flat_workgroup_size: 1024
    .name:           _ZL12ssm_conv_f32ILb1ELm128ELm3EEvPKfS1_S1_iiiiPfiiil
    .private_segment_fixed_size: 0
    .sgpr_count:     43
    .sgpr_spill_count: 0
    .symbol:         _ZL12ssm_conv_f32ILb1ELm128ELm3EEvPKfS1_S1_iiiiPfiiil.kd
    .uniform_work_group_size: 1
    .uses_dynamic_stack: false
    .vgpr_count:     18
    .vgpr_spill_count: 0
    .wavefront_size: 32
    .workgroup_processor_mode: 1
  - .args:
      - .actual_access:  read_only
        .address_space:  global
        .offset:         0
        .size:           8
        .value_kind:     global_buffer
      - .actual_access:  read_only
        .address_space:  global
        .offset:         8
        .size:           8
        .value_kind:     global_buffer
      - .actual_access:  read_only
        .address_space:  global
        .offset:         16
        .size:           8
        .value_kind:     global_buffer
      - .offset:         24
        .size:           4
        .value_kind:     by_value
      - .offset:         28
        .size:           4
        .value_kind:     by_value
      - .offset:         32
        .size:           4
        .value_kind:     by_value
      - .offset:         36
        .size:           4
        .value_kind:     by_value
      - .actual_access:  write_only
        .address_space:  global
        .offset:         40
        .size:           8
        .value_kind:     global_buffer
      - .offset:         48
        .size:           4
        .value_kind:     by_value
      - .offset:         52
        .size:           4
        .value_kind:     by_value
      - .offset:         56
        .size:           4
        .value_kind:     by_value
      - .offset:         64
        .size:           8
        .value_kind:     by_value
    .group_segment_fixed_size: 0
    .kernarg_segment_align: 8
    .kernarg_segment_size: 72
    .language:       OpenCL C
    .language_version:
      - 2
      - 0
    .max_flat_workgroup_size: 1024
    .name:           _ZL23ssm_conv_long_token_f32ILb1ELm128ELm3ELl32EEvPKfS1_S1_iiiiPfiiil
    .private_segment_fixed_size: 0
    .sgpr_count:     21
    .sgpr_spill_count: 0
    .symbol:         _ZL23ssm_conv_long_token_f32ILb1ELm128ELm3ELl32EEvPKfS1_S1_iiiiPfiiil.kd
    .uniform_work_group_size: 1
    .uses_dynamic_stack: false
    .vgpr_count:     15
    .vgpr_spill_count: 0
    .wavefront_size: 32
    .workgroup_processor_mode: 1
  - .args:
      - .address_space:  global
        .offset:         0
        .size:           8
        .value_kind:     global_buffer
      - .address_space:  global
        .offset:         8
        .size:           8
        .value_kind:     global_buffer
      - .address_space:  global
        .offset:         16
        .size:           8
        .value_kind:     global_buffer
      - .offset:         24
        .size:           4
        .value_kind:     by_value
      - .offset:         28
        .size:           4
        .value_kind:     by_value
      - .offset:         32
        .size:           4
        .value_kind:     by_value
      - .offset:         36
        .size:           4
        .value_kind:     by_value
      - .address_space:  global
        .offset:         40
        .size:           8
        .value_kind:     global_buffer
      - .offset:         48
        .size:           4
        .value_kind:     by_value
      - .offset:         52
        .size:           4
        .value_kind:     by_value
      - .offset:         56
        .size:           4
        .value_kind:     by_value
      - .offset:         64
        .size:           8
        .value_kind:     by_value
    .group_segment_fixed_size: 0
    .kernarg_segment_align: 8
    .kernarg_segment_size: 72
    .language:       OpenCL C
    .language_version:
      - 2
      - 0
    .max_flat_workgroup_size: 1024
    .name:           _ZL12ssm_conv_f32ILb1ELm128ELm4EEvPKfS1_S1_iiiiPfiiil
    .private_segment_fixed_size: 0
    .sgpr_count:     25
    .sgpr_spill_count: 0
    .symbol:         _ZL12ssm_conv_f32ILb1ELm128ELm4EEvPKfS1_S1_iiiiPfiiil.kd
    .uniform_work_group_size: 1
    .uses_dynamic_stack: false
    .vgpr_count:     20
    .vgpr_spill_count: 0
    .wavefront_size: 32
    .workgroup_processor_mode: 1
  - .args:
      - .actual_access:  read_only
        .address_space:  global
        .offset:         0
        .size:           8
        .value_kind:     global_buffer
      - .actual_access:  read_only
        .address_space:  global
        .offset:         8
        .size:           8
        .value_kind:     global_buffer
      - .actual_access:  read_only
        .address_space:  global
        .offset:         16
        .size:           8
        .value_kind:     global_buffer
      - .offset:         24
        .size:           4
        .value_kind:     by_value
      - .offset:         28
        .size:           4
        .value_kind:     by_value
      - .offset:         32
        .size:           4
        .value_kind:     by_value
      - .offset:         36
        .size:           4
        .value_kind:     by_value
      - .actual_access:  write_only
        .address_space:  global
        .offset:         40
        .size:           8
        .value_kind:     global_buffer
      - .offset:         48
        .size:           4
        .value_kind:     by_value
      - .offset:         52
        .size:           4
        .value_kind:     by_value
      - .offset:         56
        .size:           4
        .value_kind:     by_value
      - .offset:         64
        .size:           8
        .value_kind:     by_value
    .group_segment_fixed_size: 0
    .kernarg_segment_align: 8
    .kernarg_segment_size: 72
    .language:       OpenCL C
    .language_version:
      - 2
      - 0
    .max_flat_workgroup_size: 1024
    .name:           _ZL23ssm_conv_long_token_f32ILb1ELm128ELm4ELl32EEvPKfS1_S1_iiiiPfiiil
    .private_segment_fixed_size: 0
    .sgpr_count:     21
    .sgpr_spill_count: 0
    .symbol:         _ZL23ssm_conv_long_token_f32ILb1ELm128ELm4ELl32EEvPKfS1_S1_iiiiPfiiil.kd
    .uniform_work_group_size: 1
    .uses_dynamic_stack: false
    .vgpr_count:     16
    .vgpr_spill_count: 0
    .wavefront_size: 32
    .workgroup_processor_mode: 1
  - .args:
      - .address_space:  global
        .offset:         0
        .size:           8
        .value_kind:     global_buffer
      - .address_space:  global
        .offset:         8
        .size:           8
        .value_kind:     global_buffer
      - .address_space:  global
        .offset:         16
        .size:           8
        .value_kind:     global_buffer
      - .offset:         24
        .size:           4
        .value_kind:     by_value
      - .offset:         28
        .size:           4
        .value_kind:     by_value
      - .offset:         32
        .size:           4
        .value_kind:     by_value
      - .offset:         36
        .size:           4
        .value_kind:     by_value
      - .address_space:  global
        .offset:         40
        .size:           8
        .value_kind:     global_buffer
      - .offset:         48
        .size:           4
        .value_kind:     by_value
      - .offset:         52
        .size:           4
        .value_kind:     by_value
      - .offset:         56
        .size:           4
        .value_kind:     by_value
      - .offset:         64
        .size:           8
        .value_kind:     by_value
    .group_segment_fixed_size: 0
    .kernarg_segment_align: 8
    .kernarg_segment_size: 72
    .language:       OpenCL C
    .language_version:
      - 2
      - 0
    .max_flat_workgroup_size: 1024
    .name:           _ZL12ssm_conv_f32ILb1ELm128ELm5EEvPKfS1_S1_iiiiPfiiil
    .private_segment_fixed_size: 0
    .sgpr_count:     61
    .sgpr_spill_count: 0
    .symbol:         _ZL12ssm_conv_f32ILb1ELm128ELm5EEvPKfS1_S1_iiiiPfiiil.kd
    .uniform_work_group_size: 1
    .uses_dynamic_stack: false
    .vgpr_count:     22
    .vgpr_spill_count: 0
    .wavefront_size: 32
    .workgroup_processor_mode: 1
  - .args:
      - .actual_access:  read_only
        .address_space:  global
        .offset:         0
        .size:           8
        .value_kind:     global_buffer
      - .actual_access:  read_only
        .address_space:  global
        .offset:         8
        .size:           8
        .value_kind:     global_buffer
      - .actual_access:  read_only
        .address_space:  global
        .offset:         16
        .size:           8
        .value_kind:     global_buffer
      - .offset:         24
        .size:           4
        .value_kind:     by_value
      - .offset:         28
        .size:           4
        .value_kind:     by_value
      - .offset:         32
        .size:           4
        .value_kind:     by_value
      - .offset:         36
        .size:           4
        .value_kind:     by_value
      - .actual_access:  write_only
        .address_space:  global
        .offset:         40
        .size:           8
        .value_kind:     global_buffer
      - .offset:         48
        .size:           4
        .value_kind:     by_value
      - .offset:         52
        .size:           4
        .value_kind:     by_value
      - .offset:         56
        .size:           4
        .value_kind:     by_value
      - .offset:         64
        .size:           8
        .value_kind:     by_value
    .group_segment_fixed_size: 0
    .kernarg_segment_align: 8
    .kernarg_segment_size: 72
    .language:       OpenCL C
    .language_version:
      - 2
      - 0
    .max_flat_workgroup_size: 1024
    .name:           _ZL23ssm_conv_long_token_f32ILb1ELm128ELm5ELl32EEvPKfS1_S1_iiiiPfiiil
    .private_segment_fixed_size: 0
    .sgpr_count:     21
    .sgpr_spill_count: 0
    .symbol:         _ZL23ssm_conv_long_token_f32ILb1ELm128ELm5ELl32EEvPKfS1_S1_iiiiPfiiil.kd
    .uniform_work_group_size: 1
    .uses_dynamic_stack: false
    .vgpr_count:     17
    .vgpr_spill_count: 0
    .wavefront_size: 32
    .workgroup_processor_mode: 1
  - .args:
      - .address_space:  global
        .offset:         0
        .size:           8
        .value_kind:     global_buffer
      - .address_space:  global
        .offset:         8
        .size:           8
        .value_kind:     global_buffer
      - .address_space:  global
        .offset:         16
        .size:           8
        .value_kind:     global_buffer
      - .offset:         24
        .size:           4
        .value_kind:     by_value
      - .offset:         28
        .size:           4
        .value_kind:     by_value
      - .offset:         32
        .size:           4
        .value_kind:     by_value
      - .offset:         36
        .size:           4
        .value_kind:     by_value
      - .address_space:  global
        .offset:         40
        .size:           8
        .value_kind:     global_buffer
      - .offset:         48
        .size:           4
        .value_kind:     by_value
      - .offset:         52
        .size:           4
        .value_kind:     by_value
      - .offset:         56
        .size:           4
        .value_kind:     by_value
      - .offset:         64
        .size:           8
        .value_kind:     by_value
    .group_segment_fixed_size: 0
    .kernarg_segment_align: 8
    .kernarg_segment_size: 72
    .language:       OpenCL C
    .language_version:
      - 2
      - 0
    .max_flat_workgroup_size: 1024
    .name:           _ZL12ssm_conv_f32ILb1ELm128ELm9EEvPKfS1_S1_iiiiPfiiil
    .private_segment_fixed_size: 0
    .sgpr_count:     98
    .sgpr_spill_count: 0
    .symbol:         _ZL12ssm_conv_f32ILb1ELm128ELm9EEvPKfS1_S1_iiiiPfiiil.kd
    .uniform_work_group_size: 1
    .uses_dynamic_stack: false
    .vgpr_count:     30
    .vgpr_spill_count: 0
    .wavefront_size: 32
    .workgroup_processor_mode: 1
  - .args:
      - .actual_access:  read_only
        .address_space:  global
        .offset:         0
        .size:           8
        .value_kind:     global_buffer
      - .actual_access:  read_only
        .address_space:  global
        .offset:         8
        .size:           8
        .value_kind:     global_buffer
      - .actual_access:  read_only
        .address_space:  global
        .offset:         16
        .size:           8
        .value_kind:     global_buffer
      - .offset:         24
        .size:           4
        .value_kind:     by_value
      - .offset:         28
        .size:           4
        .value_kind:     by_value
      - .offset:         32
        .size:           4
        .value_kind:     by_value
      - .offset:         36
        .size:           4
        .value_kind:     by_value
      - .actual_access:  write_only
        .address_space:  global
        .offset:         40
        .size:           8
        .value_kind:     global_buffer
      - .offset:         48
        .size:           4
        .value_kind:     by_value
      - .offset:         52
        .size:           4
        .value_kind:     by_value
      - .offset:         56
        .size:           4
        .value_kind:     by_value
      - .offset:         64
        .size:           8
        .value_kind:     by_value
    .group_segment_fixed_size: 0
    .kernarg_segment_align: 8
    .kernarg_segment_size: 72
    .language:       OpenCL C
    .language_version:
      - 2
      - 0
    .max_flat_workgroup_size: 1024
    .name:           _ZL23ssm_conv_long_token_f32ILb1ELm128ELm9ELl32EEvPKfS1_S1_iiiiPfiiil
    .private_segment_fixed_size: 0
    .sgpr_count:     22
    .sgpr_spill_count: 0
    .symbol:         _ZL23ssm_conv_long_token_f32ILb1ELm128ELm9ELl32EEvPKfS1_S1_iiiiPfiiil.kd
    .uniform_work_group_size: 1
    .uses_dynamic_stack: false
    .vgpr_count:     62
    .vgpr_spill_count: 0
    .wavefront_size: 32
    .workgroup_processor_mode: 1
  - .args:
      - .address_space:  global
        .offset:         0
        .size:           8
        .value_kind:     global_buffer
      - .address_space:  global
        .offset:         8
        .size:           8
        .value_kind:     global_buffer
      - .address_space:  global
        .offset:         16
        .size:           8
        .value_kind:     global_buffer
      - .offset:         24
        .size:           4
        .value_kind:     by_value
      - .offset:         28
        .size:           4
        .value_kind:     by_value
      - .offset:         32
        .size:           4
        .value_kind:     by_value
      - .offset:         36
        .size:           4
        .value_kind:     by_value
      - .address_space:  global
        .offset:         40
        .size:           8
        .value_kind:     global_buffer
      - .offset:         48
        .size:           4
        .value_kind:     by_value
      - .offset:         52
        .size:           4
        .value_kind:     by_value
      - .offset:         56
        .size:           4
        .value_kind:     by_value
      - .offset:         64
        .size:           8
        .value_kind:     by_value
    .group_segment_fixed_size: 0
    .kernarg_segment_align: 8
    .kernarg_segment_size: 72
    .language:       OpenCL C
    .language_version:
      - 2
      - 0
    .max_flat_workgroup_size: 1024
    .name:           _ZL12ssm_conv_f32ILb1ELm128ELm15EEvPKfS1_S1_iiiiPfiiil
    .private_segment_fixed_size: 0
    .sgpr_count:     107
    .sgpr_spill_count: 4
    .symbol:         _ZL12ssm_conv_f32ILb1ELm128ELm15EEvPKfS1_S1_iiiiPfiiil.kd
    .uniform_work_group_size: 1
    .uses_dynamic_stack: false
    .vgpr_count:     47
    .vgpr_spill_count: 0
    .wavefront_size: 32
    .workgroup_processor_mode: 1
  - .args:
      - .actual_access:  read_only
        .address_space:  global
        .offset:         0
        .size:           8
        .value_kind:     global_buffer
      - .actual_access:  read_only
        .address_space:  global
        .offset:         8
        .size:           8
        .value_kind:     global_buffer
      - .actual_access:  read_only
        .address_space:  global
        .offset:         16
        .size:           8
        .value_kind:     global_buffer
      - .offset:         24
        .size:           4
        .value_kind:     by_value
      - .offset:         28
        .size:           4
        .value_kind:     by_value
      - .offset:         32
        .size:           4
        .value_kind:     by_value
      - .offset:         36
        .size:           4
        .value_kind:     by_value
      - .actual_access:  write_only
        .address_space:  global
        .offset:         40
        .size:           8
        .value_kind:     global_buffer
      - .offset:         48
        .size:           4
        .value_kind:     by_value
      - .offset:         52
        .size:           4
        .value_kind:     by_value
      - .offset:         56
        .size:           4
        .value_kind:     by_value
      - .offset:         64
        .size:           8
        .value_kind:     by_value
    .group_segment_fixed_size: 0
    .kernarg_segment_align: 8
    .kernarg_segment_size: 72
    .language:       OpenCL C
    .language_version:
      - 2
      - 0
    .max_flat_workgroup_size: 1024
    .name:           _ZL23ssm_conv_long_token_f32ILb1ELm128ELm15ELl32EEvPKfS1_S1_iiiiPfiiil
    .private_segment_fixed_size: 0
    .sgpr_count:     22
    .sgpr_spill_count: 0
    .symbol:         _ZL23ssm_conv_long_token_f32ILb1ELm128ELm15ELl32EEvPKfS1_S1_iiiiPfiiil.kd
    .uniform_work_group_size: 1
    .uses_dynamic_stack: false
    .vgpr_count:     61
    .vgpr_spill_count: 0
    .wavefront_size: 32
    .workgroup_processor_mode: 1
  - .args:
      - .address_space:  global
        .offset:         0
        .size:           8
        .value_kind:     global_buffer
      - .address_space:  global
        .offset:         8
        .size:           8
        .value_kind:     global_buffer
      - .address_space:  global
        .offset:         16
        .size:           8
        .value_kind:     global_buffer
      - .offset:         24
        .size:           4
        .value_kind:     by_value
      - .offset:         28
        .size:           4
        .value_kind:     by_value
      - .offset:         32
        .size:           4
        .value_kind:     by_value
      - .offset:         36
        .size:           4
        .value_kind:     by_value
      - .address_space:  global
        .offset:         40
        .size:           8
        .value_kind:     global_buffer
      - .offset:         48
        .size:           4
        .value_kind:     by_value
      - .offset:         52
        .size:           4
        .value_kind:     by_value
      - .offset:         56
        .size:           4
        .value_kind:     by_value
      - .offset:         64
        .size:           8
        .value_kind:     by_value
    .group_segment_fixed_size: 0
    .kernarg_segment_align: 8
    .kernarg_segment_size: 72
    .language:       OpenCL C
    .language_version:
      - 2
      - 0
    .max_flat_workgroup_size: 1024
    .name:           _ZL12ssm_conv_f32ILb0ELm128ELm3EEvPKfS1_S1_iiiiPfiiil
    .private_segment_fixed_size: 0
    .sgpr_count:     43
    .sgpr_spill_count: 0
    .symbol:         _ZL12ssm_conv_f32ILb0ELm128ELm3EEvPKfS1_S1_iiiiPfiiil.kd
    .uniform_work_group_size: 1
    .uses_dynamic_stack: false
    .vgpr_count:     14
    .vgpr_spill_count: 0
    .wavefront_size: 32
    .workgroup_processor_mode: 1
  - .args:
      - .actual_access:  read_only
        .address_space:  global
        .offset:         0
        .size:           8
        .value_kind:     global_buffer
      - .actual_access:  read_only
        .address_space:  global
        .offset:         8
        .size:           8
        .value_kind:     global_buffer
      - .actual_access:  read_only
        .address_space:  global
        .offset:         16
        .size:           8
        .value_kind:     global_buffer
      - .offset:         24
        .size:           4
        .value_kind:     by_value
      - .offset:         28
        .size:           4
        .value_kind:     by_value
      - .offset:         32
        .size:           4
        .value_kind:     by_value
      - .offset:         36
        .size:           4
        .value_kind:     by_value
      - .actual_access:  write_only
        .address_space:  global
        .offset:         40
        .size:           8
        .value_kind:     global_buffer
      - .offset:         48
        .size:           4
        .value_kind:     by_value
      - .offset:         52
        .size:           4
        .value_kind:     by_value
      - .offset:         56
        .size:           4
        .value_kind:     by_value
      - .offset:         64
        .size:           8
        .value_kind:     by_value
    .group_segment_fixed_size: 0
    .kernarg_segment_align: 8
    .kernarg_segment_size: 72
    .language:       OpenCL C
    .language_version:
      - 2
      - 0
    .max_flat_workgroup_size: 1024
    .name:           _ZL23ssm_conv_long_token_f32ILb0ELm128ELm3ELl32EEvPKfS1_S1_iiiiPfiiil
    .private_segment_fixed_size: 0
    .sgpr_count:     21
    .sgpr_spill_count: 0
    .symbol:         _ZL23ssm_conv_long_token_f32ILb0ELm128ELm3ELl32EEvPKfS1_S1_iiiiPfiiil.kd
    .uniform_work_group_size: 1
    .uses_dynamic_stack: false
    .vgpr_count:     10
    .vgpr_spill_count: 0
    .wavefront_size: 32
    .workgroup_processor_mode: 1
  - .args:
      - .address_space:  global
        .offset:         0
        .size:           8
        .value_kind:     global_buffer
      - .address_space:  global
        .offset:         8
        .size:           8
        .value_kind:     global_buffer
      - .address_space:  global
        .offset:         16
        .size:           8
        .value_kind:     global_buffer
      - .offset:         24
        .size:           4
        .value_kind:     by_value
      - .offset:         28
        .size:           4
        .value_kind:     by_value
      - .offset:         32
        .size:           4
        .value_kind:     by_value
      - .offset:         36
        .size:           4
        .value_kind:     by_value
      - .address_space:  global
        .offset:         40
        .size:           8
        .value_kind:     global_buffer
      - .offset:         48
        .size:           4
        .value_kind:     by_value
      - .offset:         52
        .size:           4
        .value_kind:     by_value
      - .offset:         56
        .size:           4
        .value_kind:     by_value
      - .offset:         64
        .size:           8
        .value_kind:     by_value
    .group_segment_fixed_size: 0
    .kernarg_segment_align: 8
    .kernarg_segment_size: 72
    .language:       OpenCL C
    .language_version:
      - 2
      - 0
    .max_flat_workgroup_size: 1024
    .name:           _ZL12ssm_conv_f32ILb0ELm128ELm4EEvPKfS1_S1_iiiiPfiiil
    .private_segment_fixed_size: 0
    .sgpr_count:     26
    .sgpr_spill_count: 0
    .symbol:         _ZL12ssm_conv_f32ILb0ELm128ELm4EEvPKfS1_S1_iiiiPfiiil.kd
    .uniform_work_group_size: 1
    .uses_dynamic_stack: false
    .vgpr_count:     17
    .vgpr_spill_count: 0
    .wavefront_size: 32
    .workgroup_processor_mode: 1
  - .args:
      - .actual_access:  read_only
        .address_space:  global
        .offset:         0
        .size:           8
        .value_kind:     global_buffer
      - .actual_access:  read_only
        .address_space:  global
        .offset:         8
        .size:           8
        .value_kind:     global_buffer
      - .actual_access:  read_only
        .address_space:  global
        .offset:         16
        .size:           8
        .value_kind:     global_buffer
      - .offset:         24
        .size:           4
        .value_kind:     by_value
      - .offset:         28
        .size:           4
        .value_kind:     by_value
      - .offset:         32
        .size:           4
        .value_kind:     by_value
      - .offset:         36
        .size:           4
        .value_kind:     by_value
      - .actual_access:  write_only
        .address_space:  global
        .offset:         40
        .size:           8
        .value_kind:     global_buffer
      - .offset:         48
        .size:           4
        .value_kind:     by_value
      - .offset:         52
        .size:           4
        .value_kind:     by_value
      - .offset:         56
        .size:           4
        .value_kind:     by_value
      - .offset:         64
        .size:           8
        .value_kind:     by_value
    .group_segment_fixed_size: 0
    .kernarg_segment_align: 8
    .kernarg_segment_size: 72
    .language:       OpenCL C
    .language_version:
      - 2
      - 0
    .max_flat_workgroup_size: 1024
    .name:           _ZL23ssm_conv_long_token_f32ILb0ELm128ELm4ELl32EEvPKfS1_S1_iiiiPfiiil
    .private_segment_fixed_size: 0
    .sgpr_count:     21
    .sgpr_spill_count: 0
    .symbol:         _ZL23ssm_conv_long_token_f32ILb0ELm128ELm4ELl32EEvPKfS1_S1_iiiiPfiiil.kd
    .uniform_work_group_size: 1
    .uses_dynamic_stack: false
    .vgpr_count:     12
    .vgpr_spill_count: 0
    .wavefront_size: 32
    .workgroup_processor_mode: 1
  - .args:
      - .address_space:  global
        .offset:         0
        .size:           8
        .value_kind:     global_buffer
      - .address_space:  global
        .offset:         8
        .size:           8
        .value_kind:     global_buffer
      - .address_space:  global
        .offset:         16
        .size:           8
        .value_kind:     global_buffer
      - .offset:         24
        .size:           4
        .value_kind:     by_value
      - .offset:         28
        .size:           4
        .value_kind:     by_value
      - .offset:         32
        .size:           4
        .value_kind:     by_value
      - .offset:         36
        .size:           4
        .value_kind:     by_value
      - .address_space:  global
        .offset:         40
        .size:           8
        .value_kind:     global_buffer
      - .offset:         48
        .size:           4
        .value_kind:     by_value
      - .offset:         52
        .size:           4
        .value_kind:     by_value
      - .offset:         56
        .size:           4
        .value_kind:     by_value
      - .offset:         64
        .size:           8
        .value_kind:     by_value
    .group_segment_fixed_size: 0
    .kernarg_segment_align: 8
    .kernarg_segment_size: 72
    .language:       OpenCL C
    .language_version:
      - 2
      - 0
    .max_flat_workgroup_size: 1024
    .name:           _ZL12ssm_conv_f32ILb0ELm128ELm5EEvPKfS1_S1_iiiiPfiiil
    .private_segment_fixed_size: 0
    .sgpr_count:     61
    .sgpr_spill_count: 0
    .symbol:         _ZL12ssm_conv_f32ILb0ELm128ELm5EEvPKfS1_S1_iiiiPfiiil.kd
    .uniform_work_group_size: 1
    .uses_dynamic_stack: false
    .vgpr_count:     18
    .vgpr_spill_count: 0
    .wavefront_size: 32
    .workgroup_processor_mode: 1
  - .args:
      - .actual_access:  read_only
        .address_space:  global
        .offset:         0
        .size:           8
        .value_kind:     global_buffer
      - .actual_access:  read_only
        .address_space:  global
        .offset:         8
        .size:           8
        .value_kind:     global_buffer
      - .actual_access:  read_only
        .address_space:  global
        .offset:         16
        .size:           8
        .value_kind:     global_buffer
      - .offset:         24
        .size:           4
        .value_kind:     by_value
      - .offset:         28
        .size:           4
        .value_kind:     by_value
      - .offset:         32
        .size:           4
        .value_kind:     by_value
      - .offset:         36
        .size:           4
        .value_kind:     by_value
      - .actual_access:  write_only
        .address_space:  global
        .offset:         40
        .size:           8
        .value_kind:     global_buffer
      - .offset:         48
        .size:           4
        .value_kind:     by_value
      - .offset:         52
        .size:           4
        .value_kind:     by_value
      - .offset:         56
        .size:           4
        .value_kind:     by_value
      - .offset:         64
        .size:           8
        .value_kind:     by_value
    .group_segment_fixed_size: 0
    .kernarg_segment_align: 8
    .kernarg_segment_size: 72
    .language:       OpenCL C
    .language_version:
      - 2
      - 0
    .max_flat_workgroup_size: 1024
    .name:           _ZL23ssm_conv_long_token_f32ILb0ELm128ELm5ELl32EEvPKfS1_S1_iiiiPfiiil
    .private_segment_fixed_size: 0
    .sgpr_count:     21
    .sgpr_spill_count: 0
    .symbol:         _ZL23ssm_conv_long_token_f32ILb0ELm128ELm5ELl32EEvPKfS1_S1_iiiiPfiiil.kd
    .uniform_work_group_size: 1
    .uses_dynamic_stack: false
    .vgpr_count:     14
    .vgpr_spill_count: 0
    .wavefront_size: 32
    .workgroup_processor_mode: 1
  - .args:
      - .address_space:  global
        .offset:         0
        .size:           8
        .value_kind:     global_buffer
      - .address_space:  global
        .offset:         8
        .size:           8
        .value_kind:     global_buffer
      - .address_space:  global
        .offset:         16
        .size:           8
        .value_kind:     global_buffer
      - .offset:         24
        .size:           4
        .value_kind:     by_value
      - .offset:         28
        .size:           4
        .value_kind:     by_value
      - .offset:         32
        .size:           4
        .value_kind:     by_value
      - .offset:         36
        .size:           4
        .value_kind:     by_value
      - .address_space:  global
        .offset:         40
        .size:           8
        .value_kind:     global_buffer
      - .offset:         48
        .size:           4
        .value_kind:     by_value
      - .offset:         52
        .size:           4
        .value_kind:     by_value
      - .offset:         56
        .size:           4
        .value_kind:     by_value
      - .offset:         64
        .size:           8
        .value_kind:     by_value
    .group_segment_fixed_size: 0
    .kernarg_segment_align: 8
    .kernarg_segment_size: 72
    .language:       OpenCL C
    .language_version:
      - 2
      - 0
    .max_flat_workgroup_size: 1024
    .name:           _ZL12ssm_conv_f32ILb0ELm128ELm9EEvPKfS1_S1_iiiiPfiiil
    .private_segment_fixed_size: 0
    .sgpr_count:     97
    .sgpr_spill_count: 0
    .symbol:         _ZL12ssm_conv_f32ILb0ELm128ELm9EEvPKfS1_S1_iiiiPfiiil.kd
    .uniform_work_group_size: 1
    .uses_dynamic_stack: false
    .vgpr_count:     30
    .vgpr_spill_count: 0
    .wavefront_size: 32
    .workgroup_processor_mode: 1
  - .args:
      - .actual_access:  read_only
        .address_space:  global
        .offset:         0
        .size:           8
        .value_kind:     global_buffer
      - .actual_access:  read_only
        .address_space:  global
        .offset:         8
        .size:           8
        .value_kind:     global_buffer
      - .actual_access:  read_only
        .address_space:  global
        .offset:         16
        .size:           8
        .value_kind:     global_buffer
      - .offset:         24
        .size:           4
        .value_kind:     by_value
      - .offset:         28
        .size:           4
        .value_kind:     by_value
      - .offset:         32
        .size:           4
        .value_kind:     by_value
      - .offset:         36
        .size:           4
        .value_kind:     by_value
      - .actual_access:  write_only
        .address_space:  global
        .offset:         40
        .size:           8
        .value_kind:     global_buffer
      - .offset:         48
        .size:           4
        .value_kind:     by_value
      - .offset:         52
        .size:           4
        .value_kind:     by_value
      - .offset:         56
        .size:           4
        .value_kind:     by_value
      - .offset:         64
        .size:           8
        .value_kind:     by_value
    .group_segment_fixed_size: 0
    .kernarg_segment_align: 8
    .kernarg_segment_size: 72
    .language:       OpenCL C
    .language_version:
      - 2
      - 0
    .max_flat_workgroup_size: 1024
    .name:           _ZL23ssm_conv_long_token_f32ILb0ELm128ELm9ELl32EEvPKfS1_S1_iiiiPfiiil
    .private_segment_fixed_size: 0
    .sgpr_count:     22
    .sgpr_spill_count: 0
    .symbol:         _ZL23ssm_conv_long_token_f32ILb0ELm128ELm9ELl32EEvPKfS1_S1_iiiiPfiiil.kd
    .uniform_work_group_size: 1
    .uses_dynamic_stack: false
    .vgpr_count:     62
    .vgpr_spill_count: 0
    .wavefront_size: 32
    .workgroup_processor_mode: 1
  - .args:
      - .address_space:  global
        .offset:         0
        .size:           8
        .value_kind:     global_buffer
      - .address_space:  global
        .offset:         8
        .size:           8
        .value_kind:     global_buffer
      - .address_space:  global
        .offset:         16
        .size:           8
        .value_kind:     global_buffer
      - .offset:         24
        .size:           4
        .value_kind:     by_value
      - .offset:         28
        .size:           4
        .value_kind:     by_value
      - .offset:         32
        .size:           4
        .value_kind:     by_value
      - .offset:         36
        .size:           4
        .value_kind:     by_value
      - .address_space:  global
        .offset:         40
        .size:           8
        .value_kind:     global_buffer
      - .offset:         48
        .size:           4
        .value_kind:     by_value
      - .offset:         52
        .size:           4
        .value_kind:     by_value
      - .offset:         56
        .size:           4
        .value_kind:     by_value
      - .offset:         64
        .size:           8
        .value_kind:     by_value
    .group_segment_fixed_size: 0
    .kernarg_segment_align: 8
    .kernarg_segment_size: 72
    .language:       OpenCL C
    .language_version:
      - 2
      - 0
    .max_flat_workgroup_size: 1024
    .name:           _ZL12ssm_conv_f32ILb0ELm128ELm15EEvPKfS1_S1_iiiiPfiiil
    .private_segment_fixed_size: 0
    .sgpr_count:     107
    .sgpr_spill_count: 4
    .symbol:         _ZL12ssm_conv_f32ILb0ELm128ELm15EEvPKfS1_S1_iiiiPfiiil.kd
    .uniform_work_group_size: 1
    .uses_dynamic_stack: false
    .vgpr_count:     47
    .vgpr_spill_count: 0
    .wavefront_size: 32
    .workgroup_processor_mode: 1
  - .args:
      - .actual_access:  read_only
        .address_space:  global
        .offset:         0
        .size:           8
        .value_kind:     global_buffer
      - .actual_access:  read_only
        .address_space:  global
        .offset:         8
        .size:           8
        .value_kind:     global_buffer
      - .actual_access:  read_only
        .address_space:  global
        .offset:         16
        .size:           8
        .value_kind:     global_buffer
      - .offset:         24
        .size:           4
        .value_kind:     by_value
      - .offset:         28
        .size:           4
        .value_kind:     by_value
      - .offset:         32
        .size:           4
        .value_kind:     by_value
      - .offset:         36
        .size:           4
        .value_kind:     by_value
      - .actual_access:  write_only
        .address_space:  global
        .offset:         40
        .size:           8
        .value_kind:     global_buffer
      - .offset:         48
        .size:           4
        .value_kind:     by_value
      - .offset:         52
        .size:           4
        .value_kind:     by_value
      - .offset:         56
        .size:           4
        .value_kind:     by_value
      - .offset:         64
        .size:           8
        .value_kind:     by_value
    .group_segment_fixed_size: 0
    .kernarg_segment_align: 8
    .kernarg_segment_size: 72
    .language:       OpenCL C
    .language_version:
      - 2
      - 0
    .max_flat_workgroup_size: 1024
    .name:           _ZL23ssm_conv_long_token_f32ILb0ELm128ELm15ELl32EEvPKfS1_S1_iiiiPfiiil
    .private_segment_fixed_size: 0
    .sgpr_count:     22
    .sgpr_spill_count: 0
    .symbol:         _ZL23ssm_conv_long_token_f32ILb0ELm128ELm15ELl32EEvPKfS1_S1_iiiiPfiiil.kd
    .uniform_work_group_size: 1
    .uses_dynamic_stack: false
    .vgpr_count:     61
    .vgpr_spill_count: 0
    .wavefront_size: 32
    .workgroup_processor_mode: 1
amdhsa.target:   amdgcn-amd-amdhsa--gfx1030
amdhsa.version:
  - 1
  - 2
...

	.end_amdgpu_metadata
